;; amdgpu-corpus repo=ROCm/rocFFT kind=compiled arch=gfx1100 opt=O3
	.text
	.amdgcn_target "amdgcn-amd-amdhsa--gfx1100"
	.amdhsa_code_object_version 6
	.protected	bluestein_single_fwd_len2430_dim1_dp_op_CI_CI ; -- Begin function bluestein_single_fwd_len2430_dim1_dp_op_CI_CI
	.globl	bluestein_single_fwd_len2430_dim1_dp_op_CI_CI
	.p2align	8
	.type	bluestein_single_fwd_len2430_dim1_dp_op_CI_CI,@function
bluestein_single_fwd_len2430_dim1_dp_op_CI_CI: ; @bluestein_single_fwd_len2430_dim1_dp_op_CI_CI
; %bb.0:
	s_load_b128 s[16:19], s[0:1], 0x28
	v_mul_u32_u24_e32 v1, 0x32a, v0
	s_mov_b32 s2, exec_lo
	v_mov_b32_e32 v3, 0
	s_delay_alu instid0(VALU_DEP_2) | instskip(NEXT) | instid1(VALU_DEP_1)
	v_lshrrev_b32_e32 v1, 16, v1
	v_add_nc_u32_e32 v2, s15, v1
	s_waitcnt lgkmcnt(0)
	s_delay_alu instid0(VALU_DEP_1)
	v_cmpx_gt_u64_e64 s[16:17], v[2:3]
	s_cbranch_execz .LBB0_2
; %bb.1:
	s_clause 0x1
	s_load_b128 s[4:7], s[0:1], 0x18
	s_load_b128 s[8:11], s[0:1], 0x0
	v_mul_lo_u16 v1, 0x51, v1
	s_mov_b32 s16, 0x134454ff
	s_mov_b32 s17, 0x3fee6f0e
	;; [unrolled: 1-line block ×4, first 2 shown]
	v_sub_nc_u16 v0, v0, v1
	s_mov_b32 s22, 0x9b97f4a8
	s_mov_b32 s23, 0x3fe9e377
	;; [unrolled: 1-line block ×3, first 2 shown]
	s_delay_alu instid0(VALU_DEP_1)
	v_dual_mov_b32 v6, v2 :: v_dual_and_b32 v7, 0xffff, v0
	scratch_store_b32 off, v0, off offset:800 ; 4-byte Folded Spill
	s_mov_b32 s24, s20
	s_mov_b32 s27, 0xbfe9e377
	;; [unrolled: 1-line block ×3, first 2 shown]
	s_clause 0x1
	scratch_store_b64 off, v[6:7], off offset:4
	scratch_store_b32 off, v7, off
	s_load_b64 s[0:1], s[0:1], 0x38
	s_waitcnt lgkmcnt(0)
	s_load_b128 s[12:15], s[4:5], 0x0
	v_lshlrev_b32_e32 v134, 4, v7
	s_delay_alu instid0(VALU_DEP_1) | instskip(NEXT) | instid1(VALU_DEP_1)
	v_add_co_u32 v14, s2, s8, v134
	v_add_co_ci_u32_e64 v15, null, s9, 0, s2
	s_delay_alu instid0(VALU_DEP_1) | instskip(NEXT) | instid1(VALU_DEP_1)
	v_dual_mov_b32 v28, v14 :: v_dual_mov_b32 v29, v15
	v_dual_mov_b32 v37, v28 :: v_dual_mov_b32 v42, v29
	s_waitcnt lgkmcnt(0)
	v_mad_u64_u32 v[0:1], null, s14, v2, 0
	v_mad_u64_u32 v[2:3], null, s12, v7, 0
	s_mul_i32 s2, s13, 0xf30
	s_mul_hi_u32 s4, s12, 0xf30
	s_mul_i32 s3, s12, 0xf30
	s_add_i32 s2, s4, s2
	s_mul_i32 s4, s13, 0xffff7c60
	v_mov_b32_e32 v46, v42
	s_delay_alu instid0(VALU_DEP_2) | instskip(SKIP_2) | instid1(VALU_DEP_3)
	v_mad_u64_u32 v[4:5], null, s15, v6, v[1:2]
	v_mov_b32_e32 v47, v37
	s_sub_i32 s4, s4, s12
	v_mov_b32_e32 v80, v46
	s_mov_b32 s15, 0xbfe2cf23
	s_delay_alu instid0(VALU_DEP_3) | instskip(SKIP_1) | instid1(VALU_DEP_3)
	v_mad_u64_u32 v[5:6], null, s13, v7, v[3:4]
	v_mov_b32_e32 v1, v4
	v_mov_b32_e32 v135, v80
	s_delay_alu instid0(VALU_DEP_2) | instskip(NEXT) | instid1(VALU_DEP_4)
	v_lshlrev_b64 v[0:1], 4, v[0:1]
	v_mov_b32_e32 v3, v5
	s_delay_alu instid0(VALU_DEP_1) | instskip(NEXT) | instid1(VALU_DEP_3)
	v_lshlrev_b64 v[2:3], 4, v[2:3]
	v_add_co_u32 v0, vcc_lo, s18, v0
	s_delay_alu instid0(VALU_DEP_4) | instskip(SKIP_1) | instid1(VALU_DEP_2)
	v_add_co_ci_u32_e32 v1, vcc_lo, s19, v1, vcc_lo
	s_mov_b32 s19, 0xbfee6f0e
	v_add_co_u32 v4, vcc_lo, v0, v2
	s_delay_alu instid0(VALU_DEP_2)
	v_add_co_ci_u32_e32 v5, vcc_lo, v1, v3, vcc_lo
	global_load_b128 v[72:75], v134, s[8:9]
	global_load_b128 v[0:3], v[4:5], off
	v_add_co_u32 v4, vcc_lo, v4, s3
	v_add_co_ci_u32_e32 v5, vcc_lo, s2, v5, vcc_lo
	v_add_co_u32 v24, vcc_lo, 0x1000, v14
	v_add_co_ci_u32_e32 v25, vcc_lo, 0, v15, vcc_lo
	s_delay_alu instid0(VALU_DEP_4) | instskip(NEXT) | instid1(VALU_DEP_4)
	v_add_co_u32 v12, vcc_lo, v4, s3
	v_add_co_ci_u32_e32 v13, vcc_lo, s2, v5, vcc_lo
	global_load_b128 v[54:57], v134, s[8:9] offset:3888
	global_load_b128 v[8:11], v[4:5], off
	global_load_b128 v[68:71], v[24:25], off offset:3680
	global_load_b128 v[4:7], v[12:13], off
	v_add_co_u32 v22, vcc_lo, 0x2000, v14
	v_add_co_ci_u32_e32 v23, vcc_lo, 0, v15, vcc_lo
	v_add_co_u32 v20, vcc_lo, 0x3000, v14
	v_add_co_ci_u32_e32 v21, vcc_lo, 0, v15, vcc_lo
	;; [unrolled: 2-line block ×3, first 2 shown]
	global_load_b128 v[64:67], v[22:23], off offset:3472
	v_add_co_u32 v26, vcc_lo, v12, s3
	v_add_co_ci_u32_e32 v27, vcc_lo, s2, v13, vcc_lo
	global_load_b128 v[12:15], v[12:13], off
	global_load_b128 v[60:63], v[20:21], off offset:3264
	global_load_b128 v[16:19], v[26:27], off
	v_add_co_u32 v30, vcc_lo, 0x4000, v28
	v_add_co_ci_u32_e32 v31, vcc_lo, 0, v29, vcc_lo
	v_add_co_u32 v32, vcc_lo, 0x5000, v28
	v_add_co_ci_u32_e32 v33, vcc_lo, 0, v29, vcc_lo
	;; [unrolled: 2-line block ×3, first 2 shown]
	global_load_b128 v[88:91], v[30:31], off offset:3056
	v_add_co_u32 v34, vcc_lo, v26, s3
	v_add_co_ci_u32_e32 v35, vcc_lo, s2, v27, vcc_lo
	global_load_b128 v[26:29], v[26:27], off
	global_load_b128 v[84:87], v[32:33], off offset:2848
	global_load_b128 v[38:41], v[34:35], off
	v_add_co_u32 v36, vcc_lo, 0x6000, v37
	v_add_co_ci_u32_e32 v37, vcc_lo, 0, v46, vcc_lo
	v_add_co_u32 v34, vcc_lo, v34, s3
	v_add_co_ci_u32_e32 v35, vcc_lo, s2, v35, vcc_lo
	global_load_b128 v[76:79], v[36:37], off offset:2640
	global_load_b128 v[42:45], v[34:35], off
	v_add_co_u32 v82, vcc_lo, 0x7000, v47
	v_add_co_ci_u32_e32 v83, vcc_lo, 0, v46, vcc_lo
	v_add_co_u32 v34, vcc_lo, v34, s3
	v_add_co_ci_u32_e32 v35, vcc_lo, s2, v35, vcc_lo
	v_mov_b32_e32 v81, v47
	global_load_b128 v[92:95], v[82:83], off offset:2432
	global_load_b128 v[46:49], v[34:35], off
	global_load_b128 v[96:99], v134, s[8:9] offset:1296
	v_add_co_u32 v34, vcc_lo, v34, s3
	v_add_co_ci_u32_e32 v35, vcc_lo, s2, v35, vcc_lo
	s_clause 0x1
	global_load_b128 v[100:103], v134, s[8:9] offset:2592
	global_load_b128 v[122:125], v[82:83], off offset:1136
	s_mov_b32 s18, s16
	s_mov_b32 s8, 0xe8584caa
	;; [unrolled: 1-line block ×3, first 2 shown]
	scratch_store_b32 off, v135, off offset:492 ; 4-byte Folded Spill
	s_waitcnt vmcnt(20)
	v_dual_mov_b32 v107, v75 :: v_dual_mov_b32 v104, v72
	s_waitcnt vmcnt(19)
	v_mul_f64 v[50:51], v[2:3], v[74:75]
	v_mov_b32_e32 v105, v73
	v_mul_f64 v[52:53], v[0:1], v[74:75]
	v_mov_b32_e32 v106, v74
	v_mov_b32_e32 v136, v81
	s_waitcnt vmcnt(18)
	v_dual_mov_b32 v75, v57 :: v_dual_mov_b32 v72, v54
	v_dual_mov_b32 v74, v56 :: v_dual_mov_b32 v73, v55
	s_waitcnt vmcnt(15)
	v_mul_f64 v[58:59], v[6:7], v[70:71]
	s_clause 0x1
	scratch_store_b128 off, v[68:71], off offset:92
	scratch_store_b128 off, v[104:107], off offset:476
	v_mul_f64 v[54:55], v[10:11], v[74:75]
	v_mul_f64 v[56:57], v[8:9], v[74:75]
	s_clause 0x1
	scratch_store_b128 off, v[72:75], off offset:108
	scratch_store_b32 off, v136, off offset:496
	s_waitcnt vmcnt(14)
	scratch_store_b128 off, v[64:67], off offset:76 ; 16-byte Folded Spill
	s_waitcnt vmcnt(12)
	scratch_store_b128 off, v[60:63], off offset:60 ; 16-byte Folded Spill
	v_fma_f64 v[0:1], v[0:1], v[104:105], v[50:51]
	v_mul_f64 v[50:51], v[4:5], v[70:71]
	v_fma_f64 v[2:3], v[2:3], v[104:105], -v[52:53]
	v_mul_f64 v[52:53], v[14:15], v[66:67]
	s_waitcnt vmcnt(10)
	scratch_store_b128 off, v[88:91], off offset:44 ; 16-byte Folded Spill
	s_waitcnt vmcnt(8)
	scratch_store_b128 off, v[84:87], off offset:28 ; 16-byte Folded Spill
	v_fma_f64 v[4:5], v[4:5], v[68:69], v[58:59]
	v_mul_f64 v[58:59], v[28:29], v[90:91]
	v_fma_f64 v[8:9], v[8:9], v[72:73], v[54:55]
	v_fma_f64 v[10:11], v[10:11], v[72:73], -v[56:57]
	v_mul_f64 v[54:55], v[12:13], v[66:67]
	v_mul_f64 v[56:57], v[18:19], v[62:63]
	s_waitcnt vmcnt(6)
	scratch_store_b128 off, v[76:79], off offset:12 ; 16-byte Folded Spill
	s_waitcnt vmcnt(4)
	scratch_store_b128 off, v[92:95], off offset:124 ; 16-byte Folded Spill
	v_fma_f64 v[6:7], v[6:7], v[68:69], -v[50:51]
	v_mul_f64 v[50:51], v[16:17], v[62:63]
	v_fma_f64 v[12:13], v[12:13], v[64:65], v[52:53]
	v_mul_f64 v[52:53], v[26:27], v[90:91]
	v_fma_f64 v[26:27], v[26:27], v[88:89], v[58:59]
	v_fma_f64 v[14:15], v[14:15], v[64:65], -v[54:55]
	v_mul_f64 v[54:55], v[40:41], v[86:87]
	v_fma_f64 v[16:17], v[16:17], v[60:61], v[56:57]
	v_fma_f64 v[18:19], v[18:19], v[60:61], -v[50:51]
	v_mul_f64 v[50:51], v[38:39], v[86:87]
	v_fma_f64 v[28:29], v[28:29], v[88:89], -v[52:53]
	v_mul_f64 v[52:53], v[44:45], v[78:79]
	v_add_co_u32 v86, vcc_lo, 0x8000, v136
	v_add_co_ci_u32_e32 v87, vcc_lo, 0, v135, vcc_lo
	global_load_b128 v[88:91], v[36:37], off offset:3936
	v_fma_f64 v[38:39], v[38:39], v[84:85], v[54:55]
	v_fma_f64 v[40:41], v[40:41], v[84:85], -v[50:51]
	v_mul_f64 v[50:51], v[42:43], v[78:79]
	v_fma_f64 v[42:43], v[42:43], v[76:77], v[52:53]
	s_waitcnt vmcnt(4)
	v_mul_f64 v[52:53], v[46:47], v[94:95]
	s_delay_alu instid0(VALU_DEP_3) | instskip(SKIP_1) | instid1(VALU_DEP_3)
	v_fma_f64 v[44:45], v[44:45], v[76:77], -v[50:51]
	v_mul_f64 v[50:51], v[48:49], v[94:95]
	v_fma_f64 v[48:49], v[48:49], v[92:93], -v[52:53]
	s_delay_alu instid0(VALU_DEP_2)
	v_fma_f64 v[46:47], v[46:47], v[92:93], v[50:51]
	global_load_b128 v[50:53], v[34:35], off
	s_clause 0x2
	global_load_b128 v[58:61], v[86:87], off offset:2224
	global_load_b128 v[126:129], v[86:87], off offset:928
	global_load_b128 v[64:67], v[24:25], off offset:1088
	s_waitcnt vmcnt(7)
	scratch_store_b128 off, v[96:99], off offset:156 ; 16-byte Folded Spill
	s_waitcnt vmcnt(2)
	v_mul_f64 v[54:55], v[52:53], v[60:61]
	v_mul_f64 v[56:57], v[50:51], v[60:61]
	scratch_store_b128 off, v[58:61], off offset:140 ; 16-byte Folded Spill
	s_waitcnt vmcnt(0)
	scratch_store_b128 off, v[64:67], off offset:172 ; 16-byte Folded Spill
	v_fma_f64 v[50:51], v[50:51], v[58:59], v[54:55]
	v_fma_f64 v[52:53], v[52:53], v[58:59], -v[56:57]
	v_mad_u64_u32 v[58:59], null, 0xffff7c60, s12, v[34:35]
	s_delay_alu instid0(VALU_DEP_1) | instskip(SKIP_4) | instid1(VALU_DEP_2)
	v_add_nc_u32_e32 v59, s4, v59
	global_load_b128 v[54:57], v[58:59], off
	s_waitcnt vmcnt(0)
	v_mul_f64 v[34:35], v[56:57], v[98:99]
	v_mul_f64 v[60:61], v[54:55], v[98:99]
	v_fma_f64 v[54:55], v[54:55], v[96:97], v[34:35]
	v_add_co_u32 v34, vcc_lo, v58, s3
	v_add_co_ci_u32_e32 v35, vcc_lo, s2, v59, vcc_lo
	s_delay_alu instid0(VALU_DEP_4)
	v_fma_f64 v[56:57], v[56:57], v[96:97], -v[60:61]
	global_load_b128 v[104:107], v[24:25], off offset:2384
	global_load_b128 v[58:61], v[34:35], off
	v_add_co_u32 v34, vcc_lo, v34, s3
	v_add_co_ci_u32_e32 v35, vcc_lo, s2, v35, vcc_lo
	s_waitcnt vmcnt(0)
	v_mul_f64 v[24:25], v[60:61], v[66:67]
	v_mul_f64 v[62:63], v[58:59], v[66:67]
	global_load_b128 v[66:69], v[22:23], off offset:880
	v_fma_f64 v[58:59], v[58:59], v[64:65], v[24:25]
	v_fma_f64 v[60:61], v[60:61], v[64:65], -v[62:63]
	s_waitcnt vmcnt(0)
	scratch_store_b128 off, v[66:69], off offset:188 ; 16-byte Folded Spill
	global_load_b128 v[108:111], v[22:23], off offset:2176
	global_load_b128 v[22:25], v[34:35], off
	v_add_co_u32 v34, vcc_lo, v34, s3
	v_add_co_ci_u32_e32 v35, vcc_lo, s2, v35, vcc_lo
	s_waitcnt vmcnt(0)
	v_mul_f64 v[62:63], v[24:25], v[68:69]
	v_mul_f64 v[64:65], v[22:23], v[68:69]
	global_load_b128 v[68:71], v[20:21], off offset:672
	v_fma_f64 v[22:23], v[22:23], v[66:67], v[62:63]
	v_fma_f64 v[24:25], v[24:25], v[66:67], -v[64:65]
	s_waitcnt vmcnt(0)
	scratch_store_b128 off, v[68:71], off offset:204 ; 16-byte Folded Spill
	global_load_b128 v[112:115], v[20:21], off offset:1968
	global_load_b128 v[62:65], v[34:35], off
	s_waitcnt vmcnt(0)
	v_mul_f64 v[20:21], v[64:65], v[70:71]
	v_mul_f64 v[66:67], v[62:63], v[70:71]
	global_load_b128 v[70:73], v[30:31], off offset:464
	v_fma_f64 v[62:63], v[62:63], v[68:69], v[20:21]
	v_add_co_u32 v20, vcc_lo, v34, s3
	v_add_co_ci_u32_e32 v21, vcc_lo, s2, v35, vcc_lo
	v_fma_f64 v[64:65], v[64:65], v[68:69], -v[66:67]
	s_waitcnt vmcnt(0)
	scratch_store_b128 off, v[70:73], off offset:220 ; 16-byte Folded Spill
	global_load_b128 v[116:119], v[30:31], off offset:1760
	global_load_b128 v[66:69], v[20:21], off
	global_load_b128 v[74:77], v[32:33], off offset:256
	v_add_co_u32 v20, vcc_lo, v20, s3
	v_add_co_ci_u32_e32 v21, vcc_lo, s2, v21, vcc_lo
	s_waitcnt vmcnt(1)
	v_mul_f64 v[30:31], v[68:69], v[72:73]
	v_mul_f64 v[34:35], v[66:67], v[72:73]
	s_waitcnt vmcnt(0)
	scratch_store_b128 off, v[74:77], off offset:236 ; 16-byte Folded Spill
	v_fma_f64 v[66:67], v[66:67], v[70:71], v[30:31]
	v_fma_f64 v[68:69], v[68:69], v[70:71], -v[34:35]
	global_load_b128 v[130:133], v[32:33], off offset:1552
	global_load_b128 v[70:73], v[20:21], off
	global_load_b128 v[78:81], v[36:37], off offset:48
	v_add_co_u32 v20, vcc_lo, v20, s3
	v_add_co_ci_u32_e32 v21, vcc_lo, s2, v21, vcc_lo
	s_waitcnt vmcnt(1)
	v_mul_f64 v[30:31], v[72:73], v[76:77]
	v_mul_f64 v[32:33], v[70:71], v[76:77]
	s_waitcnt vmcnt(0)
	scratch_store_b128 off, v[78:81], off offset:252 ; 16-byte Folded Spill
	v_fma_f64 v[70:71], v[70:71], v[74:75], v[30:31]
	v_fma_f64 v[72:73], v[72:73], v[74:75], -v[32:33]
	global_load_b128 v[34:37], v[36:37], off offset:1344
	global_load_b128 v[74:77], v[20:21], off
	v_add_co_u32 v20, vcc_lo, v20, s3
	v_add_co_ci_u32_e32 v21, vcc_lo, s2, v21, vcc_lo
	s_clause 0x8
	scratch_store_b128 off, v[88:91], off offset:268
	scratch_store_b128 off, v[100:103], off offset:316
	;; [unrolled: 1-line block ×9, first 2 shown]
	s_waitcnt vmcnt(1)
	scratch_store_b128 off, v[34:37], off offset:412 ; 16-byte Folded Spill
	s_waitcnt vmcnt(0)
	v_mul_f64 v[30:31], v[76:77], v[80:81]
	v_mul_f64 v[32:33], v[74:75], v[80:81]
	s_delay_alu instid0(VALU_DEP_2) | instskip(NEXT) | instid1(VALU_DEP_2)
	v_fma_f64 v[74:75], v[74:75], v[78:79], v[30:31]
	v_fma_f64 v[76:77], v[76:77], v[78:79], -v[32:33]
	global_load_b128 v[78:81], v[20:21], off
	v_add_co_u32 v20, vcc_lo, v20, s3
	v_add_co_ci_u32_e32 v21, vcc_lo, s2, v21, vcc_lo
	s_waitcnt vmcnt(0)
	v_mul_f64 v[30:31], v[80:81], v[90:91]
	v_mul_f64 v[32:33], v[78:79], v[90:91]
	s_delay_alu instid0(VALU_DEP_2) | instskip(NEXT) | instid1(VALU_DEP_2)
	v_fma_f64 v[78:79], v[78:79], v[88:89], v[30:31]
	v_fma_f64 v[80:81], v[80:81], v[88:89], -v[32:33]
	global_load_b128 v[88:91], v[82:83], off offset:3728
	global_load_b128 v[82:85], v[20:21], off
	v_add_co_u32 v20, vcc_lo, v20, s3
	v_add_co_ci_u32_e32 v21, vcc_lo, s2, v21, vcc_lo
	s_waitcnt vmcnt(1)
	scratch_store_b128 off, v[88:91], off offset:300 ; 16-byte Folded Spill
	s_waitcnt vmcnt(0)
	v_mul_f64 v[30:31], v[84:85], v[90:91]
	v_mul_f64 v[32:33], v[82:83], v[90:91]
	global_load_b128 v[90:93], v[86:87], off offset:3520
	v_fma_f64 v[82:83], v[82:83], v[88:89], v[30:31]
	v_fma_f64 v[84:85], v[84:85], v[88:89], -v[32:33]
	global_load_b128 v[86:89], v[20:21], off
	s_waitcnt vmcnt(1)
	scratch_store_b128 off, v[90:93], off offset:284 ; 16-byte Folded Spill
	s_waitcnt vmcnt(0)
	v_mul_f64 v[30:31], v[88:89], v[92:93]
	v_mul_f64 v[32:33], v[86:87], v[92:93]
	s_delay_alu instid0(VALU_DEP_2) | instskip(SKIP_1) | instid1(VALU_DEP_3)
	v_fma_f64 v[86:87], v[86:87], v[90:91], v[30:31]
	v_mad_u64_u32 v[30:31], null, 0xffff7c60, s12, v[20:21]
	v_fma_f64 v[88:89], v[88:89], v[90:91], -v[32:33]
	s_mov_b32 s12, 0x4755a5e
	s_mov_b32 s13, 0x3fe2cf23
	;; [unrolled: 1-line block ×3, first 2 shown]
	s_delay_alu instid0(VALU_DEP_2) | instskip(SKIP_4) | instid1(VALU_DEP_2)
	v_add_nc_u32_e32 v31, s4, v31
	global_load_b128 v[90:93], v[30:31], off
	s_waitcnt vmcnt(0)
	v_mul_f64 v[20:21], v[92:93], v[102:103]
	v_mul_f64 v[32:33], v[90:91], v[102:103]
	v_fma_f64 v[90:91], v[90:91], v[100:101], v[20:21]
	v_add_co_u32 v20, vcc_lo, v30, s3
	v_add_co_ci_u32_e32 v21, vcc_lo, s2, v31, vcc_lo
	s_delay_alu instid0(VALU_DEP_4)
	v_fma_f64 v[92:93], v[92:93], v[100:101], -v[32:33]
	global_load_b128 v[94:97], v[20:21], off
	v_add_co_u32 v20, vcc_lo, v20, s3
	v_add_co_ci_u32_e32 v21, vcc_lo, s2, v21, vcc_lo
	global_load_b128 v[98:101], v[20:21], off
	v_add_co_u32 v20, vcc_lo, v20, s3
	v_add_co_ci_u32_e32 v21, vcc_lo, s2, v21, vcc_lo
	s_waitcnt vmcnt(1)
	v_mul_f64 v[30:31], v[96:97], v[106:107]
	v_mul_f64 v[32:33], v[94:95], v[106:107]
	s_delay_alu instid0(VALU_DEP_2) | instskip(NEXT) | instid1(VALU_DEP_2)
	v_fma_f64 v[94:95], v[94:95], v[104:105], v[30:31]
	v_fma_f64 v[96:97], v[96:97], v[104:105], -v[32:33]
	s_waitcnt vmcnt(0)
	v_mul_f64 v[30:31], v[100:101], v[110:111]
	v_mul_f64 v[32:33], v[98:99], v[110:111]
	global_load_b128 v[102:105], v[20:21], off
	v_add_co_u32 v20, vcc_lo, v20, s3
	v_add_co_ci_u32_e32 v21, vcc_lo, s2, v21, vcc_lo
	v_fma_f64 v[98:99], v[98:99], v[108:109], v[30:31]
	v_fma_f64 v[100:101], v[100:101], v[108:109], -v[32:33]
	global_load_b128 v[106:109], v[20:21], off
	v_add_co_u32 v20, vcc_lo, v20, s3
	v_add_co_ci_u32_e32 v21, vcc_lo, s2, v21, vcc_lo
	s_waitcnt vmcnt(1)
	v_mul_f64 v[30:31], v[104:105], v[114:115]
	v_mul_f64 v[32:33], v[102:103], v[114:115]
	s_delay_alu instid0(VALU_DEP_2) | instskip(NEXT) | instid1(VALU_DEP_2)
	v_fma_f64 v[102:103], v[102:103], v[112:113], v[30:31]
	v_fma_f64 v[104:105], v[104:105], v[112:113], -v[32:33]
	s_waitcnt vmcnt(0)
	v_mul_f64 v[30:31], v[108:109], v[118:119]
	v_mul_f64 v[32:33], v[106:107], v[118:119]
	global_load_b128 v[110:113], v[20:21], off
	v_add_co_u32 v20, vcc_lo, v20, s3
	v_add_co_ci_u32_e32 v21, vcc_lo, s2, v21, vcc_lo
	v_fma_f64 v[106:107], v[106:107], v[116:117], v[30:31]
	v_fma_f64 v[108:109], v[108:109], v[116:117], -v[32:33]
	global_load_b128 v[114:117], v[20:21], off
	v_add_co_u32 v20, vcc_lo, v20, s3
	v_add_co_ci_u32_e32 v21, vcc_lo, s2, v21, vcc_lo
	global_load_b128 v[118:121], v[20:21], off
	v_add_co_u32 v20, vcc_lo, v20, s3
	v_add_co_ci_u32_e32 v21, vcc_lo, s2, v21, vcc_lo
	s_waitcnt vmcnt(2)
	v_mul_f64 v[30:31], v[112:113], v[132:133]
	v_mul_f64 v[32:33], v[110:111], v[132:133]
	s_delay_alu instid0(VALU_DEP_2) | instskip(NEXT) | instid1(VALU_DEP_2)
	v_fma_f64 v[110:111], v[110:111], v[130:131], v[30:31]
	v_fma_f64 v[112:113], v[112:113], v[130:131], -v[32:33]
	s_waitcnt vmcnt(1)
	v_mul_f64 v[30:31], v[116:117], v[36:37]
	v_mul_f64 v[32:33], v[114:115], v[36:37]
	s_delay_alu instid0(VALU_DEP_2) | instskip(NEXT) | instid1(VALU_DEP_2)
	v_fma_f64 v[114:115], v[114:115], v[34:35], v[30:31]
	v_fma_f64 v[116:117], v[116:117], v[34:35], -v[32:33]
	;; [unrolled: 6-line block ×3, first 2 shown]
	global_load_b128 v[122:125], v[20:21], off
	v_add_co_u32 v20, vcc_lo, v20, s3
	v_add_co_ci_u32_e32 v21, vcc_lo, s2, v21, vcc_lo
	s_mov_b32 s3, 0xbfebb67a
	s_waitcnt vmcnt(0)
	v_mul_f64 v[30:31], v[124:125], v[128:129]
	v_mul_f64 v[32:33], v[122:123], v[128:129]
	s_delay_alu instid0(VALU_DEP_2) | instskip(SKIP_2) | instid1(VALU_DEP_4)
	v_fma_f64 v[122:123], v[122:123], v[126:127], v[30:31]
	v_add_co_u32 v30, vcc_lo, 0x9000, v136
	v_add_co_ci_u32_e32 v31, vcc_lo, 0, v135, vcc_lo
	v_fma_f64 v[124:125], v[124:125], v[126:127], -v[32:33]
	scratch_store_b64 off, v[30:31], off offset:500 ; 8-byte Folded Spill
	global_load_b128 v[126:129], v[20:21], off
	global_load_b128 v[32:35], v[30:31], off offset:720
	s_waitcnt vmcnt(0)
	v_mul_f64 v[20:21], v[128:129], v[34:35]
	v_mul_f64 v[30:31], v[126:127], v[34:35]
	scratch_store_b128 off, v[32:35], off offset:460 ; 16-byte Folded Spill
	v_fma_f64 v[126:127], v[126:127], v[32:33], v[20:21]
	v_fma_f64 v[128:129], v[128:129], v[32:33], -v[30:31]
	ds_store_b128 v134, v[0:3]
	ds_store_b128 v134, v[8:11] offset:3888
	ds_store_b128 v134, v[4:7] offset:7776
	;; [unrolled: 1-line block ×29, first 2 shown]
	s_load_b128 s[4:7], s[6:7], 0x0
	s_waitcnt lgkmcnt(0)
	s_waitcnt_vscnt null, 0x0
	s_barrier
	buffer_gl0_inv
	ds_load_b128 v[8:11], v134 offset:7776
	ds_load_b128 v[0:3], v134
	ds_load_b128 v[4:7], v134 offset:1296
	ds_load_b128 v[12:15], v134 offset:9072
	;; [unrolled: 1-line block ×6, first 2 shown]
	s_waitcnt lgkmcnt(6)
	v_add_f64 v[16:17], v[0:1], v[8:9]
	s_waitcnt lgkmcnt(3)
	v_add_f64 v[22:23], v[18:19], -v[8:9]
	v_add_f64 v[192:193], v[8:9], -v[18:19]
	s_waitcnt lgkmcnt(1)
	v_add_f64 v[178:179], v[20:21], v[30:31]
	v_add_f64 v[194:195], v[10:11], -v[20:21]
	v_add_f64 v[26:27], v[20:21], -v[10:11]
	v_add_f64 v[36:37], v[18:19], v[28:29]
	v_add_f64 v[202:203], v[42:43], -v[12:13]
	s_waitcnt lgkmcnt(0)
	v_add_f64 v[226:227], v[44:45], v[50:51]
	v_add_f64 v[56:57], v[14:15], -v[44:45]
	v_add_f64 v[224:225], v[42:43], v[48:49]
	v_add_f64 v[32:33], v[16:17], v[18:19]
	;; [unrolled: 1-line block ×3, first 2 shown]
	scratch_store_b64 off, v[22:23], off offset:512 ; 8-byte Folded Spill
	ds_load_b128 v[38:41], v134 offset:31104
	ds_load_b128 v[60:63], v134 offset:32400
	v_add_f64 v[18:19], v[18:19], -v[28:29]
	v_fma_f64 v[178:179], v[178:179], -0.5, v[2:3]
	v_fma_f64 v[36:37], v[36:37], -0.5, v[0:1]
	s_waitcnt lgkmcnt(1)
	v_add_f64 v[132:133], v[8:9], v[38:39]
	v_add_f64 v[22:23], v[8:9], -v[38:39]
	v_add_f64 v[136:137], v[10:11], v[40:41]
	v_add_f64 v[196:197], v[38:39], -v[28:29]
	v_add_f64 v[24:25], v[28:29], -v[38:39]
	;; [unrolled: 1-line block ×3, first 2 shown]
	s_waitcnt lgkmcnt(0)
	v_add_f64 v[228:229], v[12:13], v[60:61]
	v_add_f64 v[230:231], v[14:15], v[62:63]
	;; [unrolled: 1-line block ×4, first 2 shown]
	v_add_f64 v[16:17], v[20:21], -v[30:31]
	v_add_f64 v[20:21], v[10:11], -v[40:41]
	v_fma_f64 v[190:191], v[132:133], -0.5, v[0:1]
	v_fma_f64 v[188:189], v[136:137], -0.5, v[2:3]
	v_add_f64 v[192:193], v[192:193], v[196:197]
	v_add_f64 v[194:195], v[194:195], v[198:199]
	;; [unrolled: 1-line block ×4, first 2 shown]
	v_add_f64 v[30:31], v[30:31], -v[40:41]
	s_delay_alu instid0(VALU_DEP_2)
	v_add_f64 v[172:173], v[10:11], v[40:41]
	ds_load_b128 v[8:11], v134 offset:11664
	ds_load_b128 v[96:99], v134 offset:3888
	;; [unrolled: 1-line block ×8, first 2 shown]
	s_waitcnt lgkmcnt(6)
	v_add_f64 v[34:35], v[96:97], v[8:9]
	s_waitcnt lgkmcnt(3)
	v_add_f64 v[216:217], v[8:9], -v[38:39]
	s_waitcnt lgkmcnt(1)
	v_add_f64 v[174:175], v[38:39], v[64:65]
	v_add_f64 v[200:201], v[40:41], -v[66:67]
	v_add_f64 v[68:69], v[38:39], -v[8:9]
	v_add_f64 v[180:181], v[40:41], v[66:67]
	v_add_f64 v[218:219], v[10:11], -v[40:41]
	v_add_f64 v[88:89], v[40:41], -v[10:11]
	s_waitcnt lgkmcnt(0)
	v_add_f64 v[248:249], v[76:77], v[84:85]
	v_add_f64 v[114:115], v[80:81], -v[76:77]
	v_add_f64 v[106:107], v[78:79], -v[74:75]
	v_add_f64 v[246:247], v[74:75], v[82:83]
	v_add_f64 v[46:47], v[34:35], v[38:39]
	;; [unrolled: 1-line block ×3, first 2 shown]
	v_fma_f64 v[180:181], v[180:181], -0.5, v[98:99]
	s_delay_alu instid0(VALU_DEP_2)
	v_add_f64 v[52:53], v[34:35], v[40:41]
	v_add_f64 v[34:35], v[38:39], -v[64:65]
	ds_load_b128 v[38:41], v134 offset:34992
	ds_load_b128 v[120:123], v134 offset:33696
	s_waitcnt lgkmcnt(1)
	v_add_f64 v[58:59], v[10:11], -v[40:41]
	v_add_f64 v[184:185], v[8:9], v[38:39]
	v_add_f64 v[54:55], v[8:9], -v[38:39]
	v_add_f64 v[208:209], v[10:11], v[40:41]
	v_add_f64 v[8:9], v[46:47], v[64:65]
	v_add_f64 v[220:221], v[38:39], -v[64:65]
	v_add_f64 v[130:131], v[64:65], -v[38:39]
	;; [unrolled: 1-line block ×6, first 2 shown]
	s_waitcnt lgkmcnt(0)
	v_add_f64 v[252:253], v[80:81], v[122:123]
	v_add_f64 v[250:251], v[78:79], v[120:121]
	v_add_f64 v[118:119], v[120:121], -v[82:83]
	v_add_f64 v[126:127], v[122:123], -v[84:85]
	v_add_f64 v[10:11], v[52:53], v[66:67]
	v_add_f64 v[52:53], v[12:13], -v[42:43]
	v_add_f64 v[66:67], v[62:63], -v[50:51]
	v_fma_f64 v[186:187], v[184:185], -0.5, v[96:97]
	v_fma_f64 v[184:185], v[208:209], -0.5, v[98:99]
	v_add_f64 v[212:213], v[8:9], v[38:39]
	v_add_f64 v[8:9], v[4:5], v[12:13]
	v_add_f64 v[38:39], v[44:45], -v[14:15]
	v_add_f64 v[198:199], v[216:217], v[220:221]
	v_add_f64 v[196:197], v[218:219], v[222:223]
	;; [unrolled: 1-line block ×3, first 2 shown]
	v_fma_f64 v[98:99], v[248:249], -0.5, v[102:103]
	v_fma_f64 v[132:133], v[252:253], -0.5, v[102:103]
	;; [unrolled: 1-line block ×3, first 2 shown]
	v_add_f64 v[214:215], v[10:11], v[40:41]
	v_add_f64 v[10:11], v[6:7], v[14:15]
	v_add_f64 v[40:41], v[44:45], -v[50:51]
	v_add_f64 v[208:209], v[32:33], v[212:213]
	v_add_f64 v[8:9], v[8:9], v[42:43]
	v_add_f64 v[42:43], v[42:43], -v[48:49]
	v_add_f64 v[212:213], v[32:33], -v[212:213]
	v_fma_f64 v[32:33], v[224:225], -0.5, v[4:5]
	v_add_f64 v[210:211], v[172:173], v[214:215]
	v_add_f64 v[10:11], v[10:11], v[44:45]
	v_add_f64 v[44:45], v[14:15], -v[62:63]
	v_add_f64 v[214:215], v[172:173], -v[214:215]
	v_fma_f64 v[172:173], v[230:231], -0.5, v[6:7]
	v_add_f64 v[8:9], v[8:9], v[48:49]
	v_add_f64 v[48:49], v[48:49], -v[60:61]
	v_add_f64 v[10:11], v[10:11], v[50:51]
	v_add_f64 v[50:51], v[50:51], -v[62:63]
	s_delay_alu instid0(VALU_DEP_4) | instskip(NEXT) | instid1(VALU_DEP_4)
	v_add_f64 v[232:233], v[8:9], v[60:61]
	v_add_f64 v[48:49], v[202:203], v[48:49]
	s_delay_alu instid0(VALU_DEP_4)
	v_add_f64 v[234:235], v[10:11], v[62:63]
	ds_load_b128 v[8:11], v134 offset:12960
	ds_load_b128 v[12:15], v134 offset:5184
	;; [unrolled: 1-line block ×8, first 2 shown]
	v_add_f64 v[38:39], v[38:39], v[50:51]
	s_waitcnt lgkmcnt(6)
	v_add_f64 v[60:61], v[12:13], v[8:9]
	s_waitcnt lgkmcnt(3)
	v_add_f64 v[148:149], v[8:9], -v[70:71]
	s_waitcnt lgkmcnt(1)
	v_add_f64 v[236:237], v[70:71], v[90:91]
	v_add_f64 v[124:125], v[70:71], -v[8:9]
	v_add_f64 v[238:239], v[72:73], v[92:93]
	v_add_f64 v[62:63], v[70:71], -v[90:91]
	v_add_f64 v[150:151], v[10:11], -v[72:73]
	;; [unrolled: 1-line block ×3, first 2 shown]
	s_waitcnt lgkmcnt(0)
	v_add_f64 v[176:177], v[156:157], v[164:165]
	v_add_f64 v[140:141], v[144:145], -v[156:157]
	v_add_f64 v[104:105], v[156:157], -v[144:145]
	v_add_f64 v[128:129], v[158:159], v[166:167]
	v_add_f64 v[142:143], v[146:147], -v[158:159]
	v_add_f64 v[112:113], v[158:159], -v[146:147]
	v_add_f64 v[86:87], v[60:61], v[70:71]
	v_add_f64 v[60:61], v[14:15], v[10:11]
	v_fma_f64 v[230:231], v[238:239], -0.5, v[14:15]
	s_delay_alu instid0(VALU_DEP_2)
	v_add_f64 v[94:95], v[60:61], v[72:73]
	v_add_f64 v[60:61], v[72:73], -v[92:93]
	ds_load_b128 v[70:73], v134 offset:36288
	ds_load_b128 v[168:171], v134 offset:37584
	s_waitcnt lgkmcnt(1)
	v_add_f64 v[110:111], v[10:11], -v[72:73]
	v_add_f64 v[240:241], v[8:9], v[70:71]
	v_add_f64 v[108:109], v[8:9], -v[70:71]
	v_add_f64 v[8:9], v[10:11], v[72:73]
	v_add_f64 v[10:11], v[86:87], v[90:91]
	v_add_f64 v[160:161], v[70:71], -v[90:91]
	v_add_f64 v[152:153], v[90:91], -v[70:71]
	;; [unrolled: 1-line block ×5, first 2 shown]
	v_add_f64 v[86:87], v[94:95], v[92:93]
	v_add_f64 v[92:93], v[82:83], -v[120:121]
	v_add_f64 v[94:95], v[84:85], -v[122:123]
	v_add_f64 v[242:243], v[10:11], v[70:71]
	v_add_f64 v[10:11], v[100:101], v[78:79]
	;; [unrolled: 1-line block ×3, first 2 shown]
	v_fma_f64 v[102:103], v[176:177], -0.5, v[204:205]
	v_add_f64 v[50:51], v[124:125], v[152:153]
	v_add_f64 v[244:245], v[86:87], v[72:73]
	v_add_f64 v[72:73], v[76:77], -v[84:85]
	v_add_f64 v[224:225], v[232:233], v[242:243]
	v_add_f64 v[10:11], v[10:11], v[74:75]
	;; [unrolled: 1-line block ×3, first 2 shown]
	v_add_f64 v[76:77], v[80:81], -v[122:123]
	v_add_f64 v[70:71], v[74:75], -v[78:79]
	;; [unrolled: 1-line block ×4, first 2 shown]
	v_add_f64 v[10:11], v[10:11], v[82:83]
	v_add_f64 v[80:81], v[86:87], v[84:85]
	v_add_f64 v[82:83], v[156:157], -v[164:165]
	s_waitcnt lgkmcnt(0)
	v_add_f64 v[84:85], v[144:145], -v[168:169]
	v_add_f64 v[86:87], v[146:147], -v[170:171]
	v_add_f64 v[254:255], v[10:11], v[120:121]
	v_add_f64 v[10:11], v[80:81], v[122:123]
	;; [unrolled: 1-line block ×3, first 2 shown]
	v_add_f64 v[122:123], v[166:167], -v[170:171]
	s_delay_alu instid0(VALU_DEP_2) | instskip(SKIP_3) | instid1(VALU_DEP_4)
	v_add_f64 v[116:117], v[80:81], v[156:157]
	v_add_f64 v[80:81], v[206:207], v[146:147]
	;; [unrolled: 1-line block ×3, first 2 shown]
	v_add_f64 v[144:145], v[168:169], -v[164:165]
	v_add_f64 v[182:183], v[116:117], v[164:165]
	s_delay_alu instid0(VALU_DEP_4)
	v_add_f64 v[120:121], v[80:81], v[158:159]
	v_add_f64 v[116:117], v[164:165], -v[168:169]
	v_add_f64 v[80:81], v[158:159], -v[166:167]
	v_add_f64 v[158:159], v[146:147], v[170:171]
	v_add_f64 v[146:147], v[170:171], -v[166:167]
	v_add_f64 v[164:165], v[182:183], v[168:169]
	v_add_f64 v[120:121], v[120:121], v[166:167]
	v_fma_f64 v[166:167], v[236:237], -0.5, v[12:13]
	v_fma_f64 v[182:183], v[174:175], -0.5, v[96:97]
	;; [unrolled: 1-line block ×6, first 2 shown]
	v_fma_f64 v[158:159], v[22:23], s[18:19], v[178:179]
	v_fma_f64 v[8:9], v[156:157], -0.5, v[204:205]
	v_fma_f64 v[174:175], v[228:229], -0.5, v[4:5]
	;; [unrolled: 1-line block ×3, first 2 shown]
	v_add_f64 v[226:227], v[234:235], v[244:245]
	v_add_f64 v[4:5], v[232:233], -v[242:243]
	v_add_f64 v[6:7], v[234:235], -v[244:245]
	v_add_f64 v[0:1], v[254:255], v[164:165]
	v_add_f64 v[120:121], v[120:121], v[170:171]
	v_fma_f64 v[170:171], v[240:241], -0.5, v[12:13]
	v_add_f64 v[12:13], v[254:255], -v[164:165]
	scratch_load_b32 v164, off, off offset:800 ; 4-byte Folded Reload
	s_waitcnt vmcnt(0)
	s_waitcnt_vscnt null, 0x0
	s_barrier
	buffer_gl0_inv
	v_fma_f64 v[158:159], v[18:19], s[14:15], v[158:159]
	v_add_f64 v[2:3], v[10:11], v[120:121]
	v_add_f64 v[14:15], v[10:11], -v[120:121]
	v_fma_f64 v[120:121], v[54:55], s[18:19], v[180:181]
	s_delay_alu instid0(VALU_DEP_4) | instskip(NEXT) | instid1(VALU_DEP_2)
	v_fma_f64 v[158:159], v[194:195], s[20:21], v[158:159]
	v_fma_f64 v[120:121], v[34:35], s[14:15], v[120:121]
	s_delay_alu instid0(VALU_DEP_1) | instskip(SKIP_1) | instid1(VALU_DEP_1)
	v_fma_f64 v[120:121], v[196:197], s[20:21], v[120:121]
	v_mul_lo_u16 v10, v164, 10
	v_and_b32_e32 v10, 0xffff, v10
	s_delay_alu instid0(VALU_DEP_1)
	v_lshlrev_b32_e32 v135, 4, v10
	v_fma_f64 v[10:11], v[58:59], s[16:17], v[182:183]
	ds_store_b128 v135, v[208:211]
	ds_store_b128 v135, v[212:215] offset:80
	scratch_store_b32 off, v135, off offset:508 ; 4-byte Folded Spill
	v_fma_f64 v[10:11], v[200:201], s[12:13], v[10:11]
	s_delay_alu instid0(VALU_DEP_1) | instskip(NEXT) | instid1(VALU_DEP_1)
	v_fma_f64 v[10:11], v[198:199], s[20:21], v[10:11]
	v_mul_f64 v[156:157], v[10:11], s[22:23]
	v_mul_f64 v[10:11], v[10:11], s[14:15]
	s_delay_alu instid0(VALU_DEP_2) | instskip(NEXT) | instid1(VALU_DEP_2)
	v_fma_f64 v[156:157], v[120:121], s[12:13], v[156:157]
	v_fma_f64 v[10:11], v[120:121], s[22:23], v[10:11]
	;; [unrolled: 1-line block ×3, first 2 shown]
	s_delay_alu instid0(VALU_DEP_2) | instskip(SKIP_3) | instid1(VALU_DEP_1)
	v_add_f64 v[206:207], v[158:159], v[10:11]
	v_add_f64 v[210:211], v[158:159], -v[10:11]
	scratch_load_b64 v[10:11], off, off offset:512 ; 8-byte Folded Reload
	v_fma_f64 v[120:121], v[16:17], s[12:13], v[120:121]
	v_fma_f64 v[120:121], v[192:193], s[20:21], v[120:121]
	s_delay_alu instid0(VALU_DEP_1) | instskip(SKIP_2) | instid1(VALU_DEP_1)
	v_add_f64 v[204:205], v[120:121], v[156:157]
	v_add_f64 v[208:209], v[120:121], -v[156:157]
	v_fma_f64 v[120:121], v[18:19], s[16:17], v[188:189]
	v_fma_f64 v[120:121], v[22:23], s[14:15], v[120:121]
	s_waitcnt vmcnt(0)
	v_add_f64 v[10:11], v[10:11], v[24:25]
	v_add_f64 v[24:25], v[26:27], v[30:31]
	v_fma_f64 v[30:31], v[34:35], s[16:17], v[184:185]
	v_add_f64 v[26:27], v[68:69], v[130:131]
	v_fma_f64 v[68:69], v[200:201], s[18:19], v[186:187]
	s_delay_alu instid0(VALU_DEP_4) | instskip(NEXT) | instid1(VALU_DEP_4)
	v_fma_f64 v[120:121], v[24:25], s[20:21], v[120:121]
	v_fma_f64 v[30:31], v[54:55], s[14:15], v[30:31]
	s_delay_alu instid0(VALU_DEP_3) | instskip(NEXT) | instid1(VALU_DEP_2)
	v_fma_f64 v[68:69], v[58:59], s[12:13], v[68:69]
	v_fma_f64 v[30:31], v[28:29], s[20:21], v[30:31]
	s_delay_alu instid0(VALU_DEP_2) | instskip(NEXT) | instid1(VALU_DEP_2)
	v_fma_f64 v[68:69], v[26:27], s[20:21], v[68:69]
	v_mul_f64 v[88:89], v[30:31], s[16:17]
	s_delay_alu instid0(VALU_DEP_1) | instskip(SKIP_1) | instid1(VALU_DEP_1)
	v_fma_f64 v[88:89], v[68:69], s[20:21], v[88:89]
	v_mul_f64 v[68:69], v[68:69], s[18:19]
	v_fma_f64 v[30:31], v[30:31], s[20:21], v[68:69]
	v_fma_f64 v[68:69], v[16:17], s[18:19], v[190:191]
	s_delay_alu instid0(VALU_DEP_2) | instskip(SKIP_2) | instid1(VALU_DEP_4)
	v_add_f64 v[214:215], v[120:121], v[30:31]
	v_add_f64 v[218:219], v[120:121], -v[30:31]
	v_fma_f64 v[30:31], v[16:17], s[16:17], v[190:191]
	v_fma_f64 v[68:69], v[20:21], s[12:13], v[68:69]
	s_delay_alu instid0(VALU_DEP_2) | instskip(NEXT) | instid1(VALU_DEP_2)
	v_fma_f64 v[30:31], v[20:21], s[14:15], v[30:31]
	v_fma_f64 v[68:69], v[10:11], s[20:21], v[68:69]
	v_fma_f64 v[20:21], v[20:21], s[18:19], v[36:37]
	v_add_f64 v[36:37], v[148:149], v[160:161]
	s_delay_alu instid0(VALU_DEP_4) | instskip(SKIP_1) | instid1(VALU_DEP_4)
	v_fma_f64 v[10:11], v[10:11], s[20:21], v[30:31]
	v_fma_f64 v[30:31], v[18:19], s[18:19], v[188:189]
	v_fma_f64 v[16:17], v[16:17], s[14:15], v[20:21]
	v_add_f64 v[212:213], v[68:69], v[88:89]
	v_add_f64 v[216:217], v[68:69], -v[88:89]
	v_add_f64 v[68:69], v[104:105], v[116:117]
	v_fma_f64 v[30:31], v[22:23], s[12:13], v[30:31]
	v_fma_f64 v[22:23], v[22:23], s[16:17], v[178:179]
	;; [unrolled: 1-line block ×3, first 2 shown]
	s_delay_alu instid0(VALU_DEP_3) | instskip(SKIP_1) | instid1(VALU_DEP_4)
	v_fma_f64 v[24:25], v[24:25], s[20:21], v[30:31]
	v_fma_f64 v[30:31], v[200:201], s[16:17], v[186:187]
	;; [unrolled: 1-line block ×3, first 2 shown]
	s_delay_alu instid0(VALU_DEP_2) | instskip(NEXT) | instid1(VALU_DEP_2)
	v_fma_f64 v[30:31], v[58:59], s[14:15], v[30:31]
	v_fma_f64 v[18:19], v[194:195], s[20:21], v[18:19]
	s_delay_alu instid0(VALU_DEP_2) | instskip(SKIP_1) | instid1(VALU_DEP_1)
	v_fma_f64 v[26:27], v[26:27], s[20:21], v[30:31]
	v_fma_f64 v[30:31], v[34:35], s[18:19], v[184:185]
	;; [unrolled: 1-line block ×3, first 2 shown]
	s_delay_alu instid0(VALU_DEP_1) | instskip(NEXT) | instid1(VALU_DEP_4)
	v_fma_f64 v[28:29], v[28:29], s[20:21], v[30:31]
	v_mul_f64 v[30:31], v[26:27], s[24:25]
	s_delay_alu instid0(VALU_DEP_1) | instskip(SKIP_1) | instid1(VALU_DEP_2)
	v_fma_f64 v[30:31], v[28:29], s[16:17], v[30:31]
	v_mul_f64 v[28:29], v[28:29], s[24:25]
	v_add_f64 v[184:185], v[10:11], v[30:31]
	s_delay_alu instid0(VALU_DEP_2) | instskip(SKIP_2) | instid1(VALU_DEP_3)
	v_fma_f64 v[26:27], v[26:27], s[18:19], v[28:29]
	v_add_f64 v[188:189], v[10:11], -v[30:31]
	v_fma_f64 v[10:11], v[58:59], s[18:19], v[182:183]
	v_add_f64 v[186:187], v[24:25], v[26:27]
	v_add_f64 v[190:191], v[24:25], -v[26:27]
	v_fma_f64 v[24:25], v[54:55], s[16:17], v[180:181]
	s_delay_alu instid0(VALU_DEP_4) | instskip(SKIP_1) | instid1(VALU_DEP_3)
	v_fma_f64 v[10:11], v[200:201], s[14:15], v[10:11]
	v_add_f64 v[54:55], v[138:139], v[154:155]
	v_fma_f64 v[20:21], v[34:35], s[12:13], v[24:25]
	s_delay_alu instid0(VALU_DEP_3) | instskip(SKIP_2) | instid1(VALU_DEP_4)
	v_fma_f64 v[10:11], v[198:199], s[20:21], v[10:11]
	v_add_f64 v[34:35], v[56:57], v[66:67]
	v_add_f64 v[66:67], v[142:143], v[146:147]
	v_fma_f64 v[20:21], v[196:197], s[20:21], v[20:21]
	s_delay_alu instid0(VALU_DEP_4) | instskip(NEXT) | instid1(VALU_DEP_1)
	v_mul_f64 v[22:23], v[10:11], s[26:27]
	v_fma_f64 v[22:23], v[20:21], s[12:13], v[22:23]
	v_mul_f64 v[20:21], v[20:21], s[26:27]
	s_delay_alu instid0(VALU_DEP_2) | instskip(NEXT) | instid1(VALU_DEP_2)
	v_add_f64 v[176:177], v[16:17], v[22:23]
	v_fma_f64 v[10:11], v[10:11], s[14:15], v[20:21]
	v_add_f64 v[180:181], v[16:17], -v[22:23]
	v_fma_f64 v[16:17], v[110:111], s[16:17], v[166:167]
	s_delay_alu instid0(VALU_DEP_3) | instskip(SKIP_1) | instid1(VALU_DEP_3)
	v_add_f64 v[178:179], v[18:19], v[10:11]
	v_add_f64 v[182:183], v[18:19], -v[10:11]
	v_fma_f64 v[16:17], v[60:61], s[12:13], v[16:17]
	v_fma_f64 v[18:19], v[108:109], s[18:19], v[230:231]
	v_add_f64 v[10:11], v[52:53], v[64:65]
	v_add_f64 v[52:53], v[150:151], v[162:163]
	;; [unrolled: 1-line block ×3, first 2 shown]
	ds_store_b128 v135, v[204:207] offset:16
	ds_store_b128 v135, v[212:215] offset:32
	;; [unrolled: 1-line block ×8, first 2 shown]
	v_fma_f64 v[16:17], v[36:37], s[20:21], v[16:17]
	v_fma_f64 v[18:19], v[62:63], s[14:15], v[18:19]
	s_delay_alu instid0(VALU_DEP_2) | instskip(NEXT) | instid1(VALU_DEP_2)
	v_mul_f64 v[20:21], v[16:17], s[22:23]
	v_fma_f64 v[18:19], v[52:53], s[20:21], v[18:19]
	v_mul_f64 v[16:17], v[16:17], s[14:15]
	s_delay_alu instid0(VALU_DEP_2) | instskip(NEXT) | instid1(VALU_DEP_2)
	v_fma_f64 v[24:25], v[18:19], s[12:13], v[20:21]
	v_fma_f64 v[18:19], v[18:19], s[22:23], v[16:17]
	;; [unrolled: 1-line block ×5, first 2 shown]
	s_delay_alu instid0(VALU_DEP_3) | instskip(NEXT) | instid1(VALU_DEP_3)
	v_fma_f64 v[16:17], v[40:41], s[12:13], v[16:17]
	v_fma_f64 v[20:21], v[42:43], s[14:15], v[20:21]
	s_delay_alu instid0(VALU_DEP_3) | instskip(NEXT) | instid1(VALU_DEP_3)
	v_fma_f64 v[32:33], v[40:41], s[14:15], v[32:33]
	v_fma_f64 v[16:17], v[10:11], s[20:21], v[16:17]
	;; [unrolled: 3-line block ×3, first 2 shown]
	s_delay_alu instid0(VALU_DEP_3)
	v_add_f64 v[20:21], v[16:17], v[24:25]
	v_add_f64 v[16:17], v[16:17], -v[24:25]
	v_fma_f64 v[24:25], v[62:63], s[16:17], v[168:169]
	v_add_f64 v[22:23], v[26:27], v[18:19]
	v_add_f64 v[18:19], v[26:27], -v[18:19]
	v_fma_f64 v[26:27], v[60:61], s[18:19], v[170:171]
	s_delay_alu instid0(VALU_DEP_4) | instskip(NEXT) | instid1(VALU_DEP_2)
	v_fma_f64 v[24:25], v[108:109], s[14:15], v[24:25]
	v_fma_f64 v[26:27], v[110:111], s[12:13], v[26:27]
	s_delay_alu instid0(VALU_DEP_2) | instskip(NEXT) | instid1(VALU_DEP_2)
	v_fma_f64 v[24:25], v[54:55], s[20:21], v[24:25]
	v_fma_f64 v[26:27], v[50:51], s[20:21], v[26:27]
	s_delay_alu instid0(VALU_DEP_2) | instskip(NEXT) | instid1(VALU_DEP_1)
	v_mul_f64 v[28:29], v[24:25], s[16:17]
	v_fma_f64 v[56:57], v[26:27], s[20:21], v[28:29]
	v_mul_f64 v[26:27], v[26:27], s[18:19]
	v_fma_f64 v[28:29], v[42:43], s[16:17], v[172:173]
	s_delay_alu instid0(VALU_DEP_2) | instskip(SKIP_1) | instid1(VALU_DEP_3)
	v_fma_f64 v[26:27], v[24:25], s[20:21], v[26:27]
	v_fma_f64 v[24:25], v[40:41], s[18:19], v[174:175]
	;; [unrolled: 1-line block ×3, first 2 shown]
	s_delay_alu instid0(VALU_DEP_2) | instskip(NEXT) | instid1(VALU_DEP_2)
	v_fma_f64 v[24:25], v[44:45], s[12:13], v[24:25]
	v_fma_f64 v[58:59], v[38:39], s[20:21], v[28:29]
	s_delay_alu instid0(VALU_DEP_2) | instskip(NEXT) | instid1(VALU_DEP_2)
	v_fma_f64 v[24:25], v[48:49], s[20:21], v[24:25]
	v_add_f64 v[30:31], v[58:59], v[26:27]
	v_add_f64 v[26:27], v[58:59], -v[26:27]
	s_delay_alu instid0(VALU_DEP_3) | instskip(SKIP_2) | instid1(VALU_DEP_1)
	v_add_f64 v[28:29], v[24:25], v[56:57]
	v_add_f64 v[24:25], v[24:25], -v[56:57]
	v_fma_f64 v[56:57], v[40:41], s[16:17], v[174:175]
	v_fma_f64 v[56:57], v[44:45], s[14:15], v[56:57]
	;; [unrolled: 1-line block ×3, first 2 shown]
	s_delay_alu instid0(VALU_DEP_2) | instskip(SKIP_1) | instid1(VALU_DEP_3)
	v_fma_f64 v[48:49], v[48:49], s[20:21], v[56:57]
	v_fma_f64 v[56:57], v[42:43], s[18:19], v[172:173]
	;; [unrolled: 1-line block ×3, first 2 shown]
	s_delay_alu instid0(VALU_DEP_2) | instskip(SKIP_1) | instid1(VALU_DEP_3)
	v_fma_f64 v[56:57], v[46:47], s[12:13], v[56:57]
	v_fma_f64 v[46:47], v[108:109], s[16:17], v[230:231]
	;; [unrolled: 1-line block ×3, first 2 shown]
	s_delay_alu instid0(VALU_DEP_3) | instskip(SKIP_1) | instid1(VALU_DEP_4)
	v_fma_f64 v[38:39], v[38:39], s[20:21], v[56:57]
	v_fma_f64 v[56:57], v[60:61], s[16:17], v[170:171]
	;; [unrolled: 1-line block ×4, first 2 shown]
	s_delay_alu instid0(VALU_DEP_3) | instskip(NEXT) | instid1(VALU_DEP_3)
	v_fma_f64 v[56:57], v[110:111], s[14:15], v[56:57]
	v_fma_f64 v[34:35], v[52:53], s[20:21], v[42:43]
	s_delay_alu instid0(VALU_DEP_3) | instskip(NEXT) | instid1(VALU_DEP_3)
	v_fma_f64 v[46:47], v[74:75], s[14:15], v[46:47]
	v_fma_f64 v[50:51], v[50:51], s[20:21], v[56:57]
	v_fma_f64 v[56:57], v[62:63], s[18:19], v[168:169]
	s_delay_alu instid0(VALU_DEP_1) | instskip(NEXT) | instid1(VALU_DEP_1)
	v_fma_f64 v[56:57], v[108:109], s[12:13], v[56:57]
	v_fma_f64 v[54:55], v[54:55], s[20:21], v[56:57]
	s_delay_alu instid0(VALU_DEP_4) | instskip(NEXT) | instid1(VALU_DEP_1)
	v_mul_f64 v[56:57], v[50:51], s[24:25]
	v_fma_f64 v[56:57], v[54:55], s[16:17], v[56:57]
	v_mul_f64 v[54:55], v[54:55], s[24:25]
	s_delay_alu instid0(VALU_DEP_2) | instskip(NEXT) | instid1(VALU_DEP_2)
	v_add_f64 v[152:153], v[48:49], v[56:57]
	v_fma_f64 v[50:51], v[50:51], s[18:19], v[54:55]
	v_add_f64 v[148:149], v[48:49], -v[56:57]
	s_delay_alu instid0(VALU_DEP_2) | instskip(SKIP_2) | instid1(VALU_DEP_1)
	v_add_f64 v[154:155], v[38:39], v[50:51]
	v_add_f64 v[150:151], v[38:39], -v[50:51]
	v_fma_f64 v[38:39], v[110:111], s[18:19], v[166:167]
	v_fma_f64 v[38:39], v[60:61], s[14:15], v[38:39]
	s_delay_alu instid0(VALU_DEP_1) | instskip(NEXT) | instid1(VALU_DEP_1)
	v_fma_f64 v[36:37], v[36:37], s[20:21], v[38:39]
	v_mul_f64 v[38:39], v[36:37], s[26:27]
	s_delay_alu instid0(VALU_DEP_1) | instskip(SKIP_1) | instid1(VALU_DEP_2)
	v_fma_f64 v[38:39], v[34:35], s[12:13], v[38:39]
	v_mul_f64 v[34:35], v[34:35], s[26:27]
	v_add_f64 v[56:57], v[10:11], v[38:39]
	s_delay_alu instid0(VALU_DEP_2) | instskip(SKIP_3) | instid1(VALU_DEP_4)
	v_fma_f64 v[34:35], v[36:37], s[14:15], v[34:35]
	v_add_f64 v[40:41], v[10:11], -v[38:39]
	v_add_f64 v[37:38], v[114:115], v[126:127]
	v_add_f64 v[10:11], v[106:107], v[118:119]
	;; [unrolled: 1-line block ×3, first 2 shown]
	v_add_f64 v[42:43], v[32:33], -v[34:35]
	v_fma_f64 v[32:33], v[86:87], s[16:17], v[102:103]
	v_fma_f64 v[34:35], v[84:85], s[18:19], v[100:101]
	;; [unrolled: 1-line block ×3, first 2 shown]
	s_delay_alu instid0(VALU_DEP_3) | instskip(NEXT) | instid1(VALU_DEP_3)
	v_fma_f64 v[32:33], v[80:81], s[12:13], v[32:33]
	v_fma_f64 v[34:35], v[82:83], s[14:15], v[34:35]
	s_delay_alu instid0(VALU_DEP_2) | instskip(NEXT) | instid1(VALU_DEP_2)
	v_fma_f64 v[32:33], v[64:65], s[20:21], v[32:33]
	v_fma_f64 v[34:35], v[66:67], s[20:21], v[34:35]
	s_delay_alu instid0(VALU_DEP_2) | instskip(SKIP_1) | instid1(VALU_DEP_2)
	v_mul_f64 v[44:45], v[32:33], s[22:23]
	v_mul_f64 v[32:33], v[32:33], s[14:15]
	v_fma_f64 v[44:45], v[34:35], s[12:13], v[44:45]
	s_delay_alu instid0(VALU_DEP_2) | instskip(SKIP_1) | instid1(VALU_DEP_2)
	v_fma_f64 v[32:33], v[34:35], s[22:23], v[32:33]
	v_fma_f64 v[34:35], v[76:77], s[16:17], v[96:97]
	v_add_f64 v[54:55], v[46:47], v[32:33]
	s_delay_alu instid0(VALU_DEP_2) | instskip(SKIP_3) | instid1(VALU_DEP_4)
	v_fma_f64 v[34:35], v[72:73], s[12:13], v[34:35]
	v_add_f64 v[50:51], v[46:47], -v[32:33]
	v_fma_f64 v[32:33], v[82:83], s[16:17], v[128:129]
	v_add_f64 v[46:47], v[90:91], v[94:95]
	v_fma_f64 v[34:35], v[10:11], s[20:21], v[34:35]
	s_delay_alu instid0(VALU_DEP_3) | instskip(NEXT) | instid1(VALU_DEP_2)
	v_fma_f64 v[32:33], v[84:85], s[14:15], v[32:33]
	v_add_f64 v[52:53], v[34:35], v[44:45]
	v_add_f64 v[48:49], v[34:35], -v[44:45]
	v_add_f64 v[44:45], v[70:71], v[92:93]
	v_add_f64 v[70:71], v[112:113], v[122:123]
	v_fma_f64 v[34:35], v[80:81], s[18:19], v[8:9]
	v_fma_f64 v[8:9], v[80:81], s[16:17], v[8:9]
	v_mov_b32_e32 v113, v164
	s_delay_alu instid0(VALU_DEP_1) | instskip(SKIP_3) | instid1(VALU_DEP_3)
	v_cmp_gt_u16_e32 vcc_lo, 9, v113
	v_fma_f64 v[32:33], v[70:71], s[20:21], v[32:33]
	v_fma_f64 v[34:35], v[86:87], s[12:13], v[34:35]
	;; [unrolled: 1-line block ×3, first 2 shown]
	v_mul_f64 v[60:61], v[32:33], s[16:17]
	s_delay_alu instid0(VALU_DEP_3) | instskip(NEXT) | instid1(VALU_DEP_3)
	v_fma_f64 v[34:35], v[68:69], s[20:21], v[34:35]
	v_fma_f64 v[8:9], v[68:69], s[20:21], v[8:9]
	s_delay_alu instid0(VALU_DEP_2) | instskip(SKIP_2) | instid1(VALU_DEP_2)
	v_fma_f64 v[88:89], v[34:35], s[20:21], v[60:61]
	v_mul_f64 v[34:35], v[34:35], s[18:19]
	v_fma_f64 v[60:61], v[74:75], s[16:17], v[132:133]
	v_fma_f64 v[35:36], v[32:33], s[20:21], v[34:35]
	;; [unrolled: 1-line block ×3, first 2 shown]
	s_delay_alu instid0(VALU_DEP_3) | instskip(NEXT) | instid1(VALU_DEP_2)
	v_fma_f64 v[60:61], v[78:79], s[14:15], v[60:61]
	v_fma_f64 v[32:33], v[76:77], s[12:13], v[32:33]
	s_delay_alu instid0(VALU_DEP_2) | instskip(NEXT) | instid1(VALU_DEP_2)
	v_fma_f64 v[90:91], v[46:47], s[20:21], v[60:61]
	v_fma_f64 v[32:33], v[44:45], s[20:21], v[32:33]
	s_delay_alu instid0(VALU_DEP_2) | instskip(SKIP_1) | instid1(VALU_DEP_3)
	v_add_f64 v[62:63], v[90:91], v[35:36]
	v_add_f64 v[35:36], v[90:91], -v[35:36]
	v_add_f64 v[60:61], v[32:33], v[88:89]
	v_add_f64 v[33:34], v[32:33], -v[88:89]
	v_fma_f64 v[88:89], v[72:73], s[16:17], v[136:137]
	s_delay_alu instid0(VALU_DEP_1) | instskip(NEXT) | instid1(VALU_DEP_1)
	v_fma_f64 v[88:89], v[76:77], s[14:15], v[88:89]
	v_fma_f64 v[88:89], v[44:45], s[20:21], v[88:89]
	;; [unrolled: 1-line block ×3, first 2 shown]
	s_delay_alu instid0(VALU_DEP_1) | instskip(NEXT) | instid1(VALU_DEP_1)
	v_fma_f64 v[44:45], v[78:79], s[12:13], v[44:45]
	v_fma_f64 v[90:91], v[46:47], s[20:21], v[44:45]
	;; [unrolled: 1-line block ×3, first 2 shown]
	v_mul_f64 v[46:47], v[8:9], s[24:25]
	s_delay_alu instid0(VALU_DEP_2) | instskip(NEXT) | instid1(VALU_DEP_1)
	v_fma_f64 v[44:45], v[84:85], s[12:13], v[44:45]
	v_fma_f64 v[44:45], v[70:71], s[20:21], v[44:45]
	;; [unrolled: 1-line block ×3, first 2 shown]
	s_delay_alu instid0(VALU_DEP_2) | instskip(SKIP_1) | instid1(VALU_DEP_3)
	v_fma_f64 v[68:69], v[44:45], s[16:17], v[46:47]
	v_mul_f64 v[44:45], v[44:45], s[24:25]
	v_fma_f64 v[70:71], v[74:75], s[12:13], v[70:71]
	s_delay_alu instid0(VALU_DEP_2) | instskip(NEXT) | instid1(VALU_DEP_4)
	v_fma_f64 v[8:9], v[8:9], s[18:19], v[44:45]
	v_add_f64 v[44:45], v[88:89], v[68:69]
	v_add_f64 v[88:89], v[88:89], -v[68:69]
	v_fma_f64 v[68:69], v[76:77], s[18:19], v[96:97]
	v_fma_f64 v[76:77], v[84:85], s[16:17], v[100:101]
	;; [unrolled: 1-line block ×3, first 2 shown]
	v_add_f64 v[46:47], v[90:91], v[8:9]
	v_add_f64 v[90:91], v[90:91], -v[8:9]
	v_fma_f64 v[8:9], v[86:87], s[18:19], v[102:103]
	v_fma_f64 v[68:69], v[72:73], s[14:15], v[68:69]
	;; [unrolled: 1-line block ×3, first 2 shown]
	s_delay_alu instid0(VALU_DEP_3) | instskip(NEXT) | instid1(VALU_DEP_3)
	v_fma_f64 v[8:9], v[80:81], s[14:15], v[8:9]
	v_fma_f64 v[10:11], v[10:11], s[20:21], v[68:69]
	s_delay_alu instid0(VALU_DEP_2) | instskip(NEXT) | instid1(VALU_DEP_4)
	v_fma_f64 v[8:9], v[64:65], s[20:21], v[8:9]
	v_fma_f64 v[64:65], v[66:67], s[20:21], v[72:73]
	s_delay_alu instid0(VALU_DEP_2) | instskip(NEXT) | instid1(VALU_DEP_1)
	v_mul_f64 v[66:67], v[8:9], s[26:27]
	v_fma_f64 v[66:67], v[64:65], s[12:13], v[66:67]
	v_mul_f64 v[64:65], v[64:65], s[26:27]
	s_delay_alu instid0(VALU_DEP_2) | instskip(NEXT) | instid1(VALU_DEP_2)
	v_add_f64 v[68:69], v[10:11], v[66:67]
	v_fma_f64 v[8:9], v[8:9], s[14:15], v[64:65]
	v_add_f64 v[64:65], v[10:11], -v[66:67]
	s_delay_alu instid0(VALU_DEP_2) | instskip(SKIP_4) | instid1(VALU_DEP_1)
	v_add_f64 v[70:71], v[37:38], v[8:9]
	v_add_f64 v[66:67], v[37:38], -v[8:9]
	scratch_load_b32 v9, off, off           ; 4-byte Folded Reload
	s_waitcnt vmcnt(0)
	v_add_co_u32 v32, s2, 0x51, v9
	v_add_co_ci_u32_e64 v8, null, 0, 0, s2
	s_delay_alu instid0(VALU_DEP_2) | instskip(SKIP_2) | instid1(VALU_DEP_1)
	v_mov_b32_e32 v221, v32
	scratch_store_b32 off, v8, off offset:512 ; 4-byte Folded Spill
	v_mul_u32_u24_e32 v8, 10, v32
	v_lshlrev_b32_e32 v8, 4, v8
	scratch_store_b32 off, v8, off offset:1404 ; 4-byte Folded Spill
	ds_store_b128 v8, v[224:227]
	ds_store_b128 v8, v[20:23] offset:16
	ds_store_b128 v8, v[28:31] offset:32
	;; [unrolled: 1-line block ×9, first 2 shown]
	v_mov_b32_e32 v154, v9
	v_mov_b32_e32 v152, v134
	s_delay_alu instid0(VALU_DEP_2) | instskip(SKIP_1) | instid1(VALU_DEP_2)
	v_add_co_u32 v56, null, 0xa2, v154
	v_add_co_u32 v153, s2, 0xf3, v154
	v_mul_u32_u24_e32 v4, 10, v56
	s_delay_alu instid0(VALU_DEP_2) | instskip(NEXT) | instid1(VALU_DEP_2)
	v_and_b32_e32 v112, 0xffff, v153
	v_lshlrev_b32_e32 v4, 4, v4
	scratch_store_b32 off, v4, off offset:1392 ; 4-byte Folded Spill
	ds_store_b128 v4, v[0:3]
	ds_store_b128 v4, v[52:55] offset:16
	ds_store_b128 v4, v[60:63] offset:32
	;; [unrolled: 1-line block ×9, first 2 shown]
	v_and_b32_e32 v46, 0xff, v113
	s_waitcnt lgkmcnt(0)
	s_waitcnt_vscnt null, 0x0
	s_barrier
	buffer_gl0_inv
	v_and_b32_e32 v47, 0xff, v32
	v_mul_lo_u16 v0, 0xcd, v46
	s_delay_alu instid0(VALU_DEP_1) | instskip(NEXT) | instid1(VALU_DEP_1)
	v_lshrrev_b16 v48, 11, v0
	v_mul_lo_u16 v0, v48, 10
	s_delay_alu instid0(VALU_DEP_1) | instskip(NEXT) | instid1(VALU_DEP_1)
	v_sub_nc_u16 v0, v113, v0
	v_and_b32_e32 v49, 0xff, v0
	s_delay_alu instid0(VALU_DEP_1)
	v_lshlrev_b32_e32 v0, 5, v49
	s_clause 0x1
	global_load_b128 v[10:13], v0, s[10:11]
	global_load_b128 v[18:21], v0, s[10:11] offset:16
	s_waitcnt vmcnt(1)
	scratch_store_b128 off, v[10:13], off offset:1080 ; 16-byte Folded Spill
	ds_load_b128 v[0:3], v134 offset:12960
	ds_load_b128 v[4:7], v134 offset:14256
	s_waitcnt lgkmcnt(1)
	v_mul_f64 v[8:9], v[2:3], v[12:13]
	s_delay_alu instid0(VALU_DEP_1) | instskip(SKIP_1) | instid1(VALU_DEP_1)
	v_fma_f64 v[8:9], v[0:1], v[10:11], -v[8:9]
	v_mul_f64 v[0:1], v[0:1], v[12:13]
	v_fma_f64 v[12:13], v[2:3], v[10:11], v[0:1]
	ds_load_b128 v[0:3], v134 offset:25920
	ds_load_b128 v[24:27], v134 offset:27216
	s_waitcnt vmcnt(0) lgkmcnt(1)
	v_mul_f64 v[10:11], v[2:3], v[20:21]
	s_delay_alu instid0(VALU_DEP_1) | instskip(SKIP_1) | instid1(VALU_DEP_1)
	v_fma_f64 v[16:17], v[0:1], v[18:19], -v[10:11]
	v_mul_f64 v[0:1], v[0:1], v[20:21]
	v_fma_f64 v[22:23], v[2:3], v[18:19], v[0:1]
	v_mul_lo_u16 v0, 0xcd, v47
	s_delay_alu instid0(VALU_DEP_1) | instskip(NEXT) | instid1(VALU_DEP_1)
	v_lshrrev_b16 v50, 11, v0
	v_mul_lo_u16 v0, v50, 10
	s_delay_alu instid0(VALU_DEP_1) | instskip(NEXT) | instid1(VALU_DEP_1)
	v_sub_nc_u16 v0, v32, v0
	v_and_b32_e32 v51, 0xff, v0
	s_delay_alu instid0(VALU_DEP_1)
	v_lshlrev_b32_e32 v0, 5, v51
	global_load_b128 v[28:31], v0, s[10:11] offset:16
	scratch_store_b128 off, v[18:21], off offset:1048 ; 16-byte Folded Spill
	global_load_b128 v[18:21], v0, s[10:11]
	s_waitcnt vmcnt(1)
	scratch_store_b128 off, v[28:31], off offset:1128 ; 16-byte Folded Spill
	s_waitcnt vmcnt(0)
	v_mul_f64 v[0:1], v[6:7], v[20:21]
	scratch_store_b128 off, v[18:21], off offset:1112 ; 16-byte Folded Spill
	v_fma_f64 v[10:11], v[4:5], v[18:19], -v[0:1]
	v_mul_f64 v[0:1], v[4:5], v[20:21]
	s_delay_alu instid0(VALU_DEP_1) | instskip(SKIP_2) | instid1(VALU_DEP_1)
	v_fma_f64 v[20:21], v[6:7], v[18:19], v[0:1]
	s_waitcnt lgkmcnt(0)
	v_mul_f64 v[0:1], v[26:27], v[30:31]
	v_fma_f64 v[18:19], v[24:25], v[28:29], -v[0:1]
	v_mul_f64 v[0:1], v[24:25], v[30:31]
	s_delay_alu instid0(VALU_DEP_1) | instskip(SKIP_1) | instid1(VALU_DEP_1)
	v_fma_f64 v[24:25], v[26:27], v[28:29], v[0:1]
	v_and_b32_e32 v1, 0xff, v56
	v_mul_lo_u16 v0, 0xcd, v1
	v_mov_b32_e32 v222, v1
	s_delay_alu instid0(VALU_DEP_2) | instskip(NEXT) | instid1(VALU_DEP_1)
	v_lshrrev_b16 v52, 11, v0
	v_mul_lo_u16 v0, v52, 10
	s_delay_alu instid0(VALU_DEP_1) | instskip(NEXT) | instid1(VALU_DEP_1)
	v_sub_nc_u16 v0, v56, v0
	v_and_b32_e32 v53, 0xff, v0
	s_delay_alu instid0(VALU_DEP_1)
	v_lshlrev_b32_e32 v0, 5, v53
	s_clause 0x1
	global_load_b128 v[32:35], v0, s[10:11]
	global_load_b128 v[28:31], v0, s[10:11] offset:16
	s_waitcnt vmcnt(1)
	scratch_store_b128 off, v[32:35], off offset:1096 ; 16-byte Folded Spill
	ds_load_b128 v[4:7], v134 offset:15552
	ds_load_b128 v[0:3], v134 offset:16848
	s_waitcnt lgkmcnt(1)
	v_mul_f64 v[14:15], v[6:7], v[34:35]
	s_delay_alu instid0(VALU_DEP_1) | instskip(SKIP_1) | instid1(VALU_DEP_1)
	v_fma_f64 v[14:15], v[4:5], v[32:33], -v[14:15]
	v_mul_f64 v[4:5], v[4:5], v[34:35]
	v_fma_f64 v[26:27], v[6:7], v[32:33], v[4:5]
	ds_load_b128 v[38:41], v134 offset:28512
	ds_load_b128 v[4:7], v134 offset:29808
	s_waitcnt vmcnt(0)
	v_dual_mov_b32 v35, v31 :: v_dual_mov_b32 v34, v30
	v_dual_mov_b32 v33, v29 :: v_dual_mov_b32 v32, v28
	scratch_store_b128 off, v[32:35], off offset:1064 ; 16-byte Folded Spill
	s_waitcnt lgkmcnt(1)
	v_mul_f64 v[28:29], v[40:41], v[34:35]
	v_mul_f64 v[30:31], v[38:39], v[34:35]
	s_delay_alu instid0(VALU_DEP_2) | instskip(NEXT) | instid1(VALU_DEP_2)
	v_fma_f64 v[28:29], v[38:39], v[32:33], -v[28:29]
	v_fma_f64 v[30:31], v[40:41], v[32:33], v[30:31]
	v_mul_u32_u24_e32 v32, 0xcccd, v112
	v_add_co_ci_u32_e64 v33, null, 0, 0, s2
	s_mov_b32 s2, s8
	s_delay_alu instid0(VALU_DEP_2) | instskip(NEXT) | instid1(VALU_DEP_1)
	v_lshrrev_b32_e32 v111, 19, v32
	v_mul_lo_u16 v32, v111, 10
	s_delay_alu instid0(VALU_DEP_1) | instskip(NEXT) | instid1(VALU_DEP_1)
	v_sub_nc_u16 v114, v153, v32
	v_lshlrev_b16 v32, 1, v114
	s_delay_alu instid0(VALU_DEP_1) | instskip(NEXT) | instid1(VALU_DEP_1)
	v_and_b32_e32 v32, 0xffff, v32
	v_lshlrev_b32_e32 v32, 4, v32
	s_clause 0x1
	global_load_b128 v[40:43], v32, s[10:11]
	global_load_b128 v[36:39], v32, s[10:11] offset:16
	scratch_store_b32 off, v33, off offset:592 ; 4-byte Folded Spill
	v_add_f64 v[107:108], v[26:27], -v[30:31]
	s_waitcnt vmcnt(1)
	scratch_store_b128 off, v[40:43], off offset:1736 ; 16-byte Folded Spill
	v_mul_f64 v[32:33], v[2:3], v[42:43]
	s_delay_alu instid0(VALU_DEP_1) | instskip(SKIP_1) | instid1(VALU_DEP_1)
	v_fma_f64 v[32:33], v[0:1], v[40:41], -v[32:33]
	v_mul_f64 v[0:1], v[0:1], v[42:43]
	v_fma_f64 v[34:35], v[2:3], v[40:41], v[0:1]
	s_waitcnt vmcnt(0)
	v_dual_mov_b32 v43, v39 :: v_dual_mov_b32 v42, v38
	v_dual_mov_b32 v41, v37 :: v_dual_mov_b32 v40, v36
	s_waitcnt lgkmcnt(0)
	s_delay_alu instid0(VALU_DEP_2) | instskip(SKIP_3) | instid1(VALU_DEP_1)
	v_mul_f64 v[0:1], v[6:7], v[42:43]
	scratch_store_b128 off, v[40:43], off offset:1720 ; 16-byte Folded Spill
	v_fma_f64 v[38:39], v[4:5], v[40:41], -v[0:1]
	v_mul_f64 v[0:1], v[4:5], v[42:43]
	v_fma_f64 v[40:41], v[6:7], v[40:41], v[0:1]
	v_add_co_u32 v1, null, 0x144, v154
	s_delay_alu instid0(VALU_DEP_1) | instskip(SKIP_1) | instid1(VALU_DEP_2)
	v_and_b32_e32 v118, 0xffff, v1
	v_mov_b32_e32 v220, v1
	v_mul_u32_u24_e32 v0, 0xcccd, v118
	s_delay_alu instid0(VALU_DEP_1) | instskip(NEXT) | instid1(VALU_DEP_1)
	v_lshrrev_b32_e32 v115, 19, v0
	v_mul_lo_u16 v0, v115, 10
	s_delay_alu instid0(VALU_DEP_1) | instskip(NEXT) | instid1(VALU_DEP_1)
	v_sub_nc_u16 v116, v1, v0
	v_lshlrev_b16 v0, 1, v116
	s_delay_alu instid0(VALU_DEP_1) | instskip(NEXT) | instid1(VALU_DEP_1)
	v_and_b32_e32 v0, 0xffff, v0
	v_lshlrev_b32_e32 v0, 4, v0
	s_clause 0x1
	global_load_b128 v[65:68], v0, s[10:11]
	global_load_b128 v[61:64], v0, s[10:11] offset:16
	s_waitcnt vmcnt(1)
	scratch_store_b128 off, v[65:68], off offset:1752 ; 16-byte Folded Spill
	s_waitcnt vmcnt(0)
	scratch_store_b128 off, v[61:64], off offset:1704 ; 16-byte Folded Spill
	ds_load_b128 v[1:4], v134 offset:18144
	ds_load_b128 v[57:60], v134 offset:19440
	s_waitcnt lgkmcnt(1)
	v_mul_f64 v[5:6], v[3:4], v[67:68]
	s_delay_alu instid0(VALU_DEP_1) | instskip(SKIP_1) | instid1(VALU_DEP_1)
	v_fma_f64 v[42:43], v[1:2], v[65:66], -v[5:6]
	v_mul_f64 v[0:1], v[1:2], v[67:68]
	v_fma_f64 v[44:45], v[3:4], v[65:66], v[0:1]
	ds_load_b128 v[1:4], v134 offset:31104
	ds_load_b128 v[67:70], v134 offset:32400
	s_waitcnt lgkmcnt(1)
	v_mul_f64 v[5:6], v[3:4], v[63:64]
	s_delay_alu instid0(VALU_DEP_1) | instskip(SKIP_1) | instid1(VALU_DEP_1)
	v_fma_f64 v[54:55], v[1:2], v[61:62], -v[5:6]
	v_mul_f64 v[0:1], v[1:2], v[63:64]
	v_fma_f64 v[0:1], v[3:4], v[61:62], v[0:1]
	v_add_co_u32 v3, null, 0x195, v154
	s_delay_alu instid0(VALU_DEP_1) | instskip(NEXT) | instid1(VALU_DEP_1)
	v_dual_mov_b32 v155, v3 :: v_dual_and_b32 v6, 0xffff, v3
	v_mul_u32_u24_e32 v2, 0xcccd, v6
	s_delay_alu instid0(VALU_DEP_1) | instskip(NEXT) | instid1(VALU_DEP_1)
	v_lshrrev_b32_e32 v117, 19, v2
	v_mul_lo_u16 v2, v117, 10
	s_delay_alu instid0(VALU_DEP_1) | instskip(NEXT) | instid1(VALU_DEP_1)
	v_sub_nc_u16 v119, v3, v2
	v_lshlrev_b16 v2, 1, v119
	s_delay_alu instid0(VALU_DEP_1) | instskip(NEXT) | instid1(VALU_DEP_1)
	v_and_b32_e32 v2, 0xffff, v2
	v_lshlrev_b32_e32 v2, 4, v2
	s_clause 0x1
	global_load_b128 v[63:66], v2, s[10:11]
	global_load_b128 v[71:74], v2, s[10:11] offset:16
	s_waitcnt vmcnt(1)
	v_mul_f64 v[2:3], v[59:60], v[65:66]
	scratch_store_b128 off, v[63:66], off offset:1784 ; 16-byte Folded Spill
	v_fma_f64 v[61:62], v[57:58], v[63:64], -v[2:3]
	v_mul_f64 v[2:3], v[57:58], v[65:66]
	s_delay_alu instid0(VALU_DEP_1)
	v_fma_f64 v[63:64], v[59:60], v[63:64], v[2:3]
	s_waitcnt vmcnt(0)
	v_mov_b32_e32 v57, v71
	v_dual_mov_b32 v59, v73 :: v_dual_mov_b32 v60, v74
	v_mov_b32_e32 v58, v72
	s_waitcnt lgkmcnt(0)
	s_delay_alu instid0(VALU_DEP_2) | instskip(NEXT) | instid1(VALU_DEP_1)
	v_mul_f64 v[2:3], v[69:70], v[59:60]
	v_fma_f64 v[71:72], v[67:68], v[57:58], -v[2:3]
	v_mul_f64 v[2:3], v[67:68], v[59:60]
	s_delay_alu instid0(VALU_DEP_1) | instskip(SKIP_1) | instid1(VALU_DEP_1)
	v_fma_f64 v[73:74], v[69:70], v[57:58], v[2:3]
	v_add_co_u32 v3, null, 0x1e6, v154
	v_dual_mov_b32 v219, v3 :: v_dual_and_b32 v4, 0xffff, v3
	s_delay_alu instid0(VALU_DEP_1) | instskip(SKIP_1) | instid1(VALU_DEP_2)
	v_mul_u32_u24_e32 v2, 0xcccd, v4
	v_mov_b32_e32 v223, v4
	v_lshrrev_b32_e32 v120, 19, v2
	s_delay_alu instid0(VALU_DEP_1) | instskip(NEXT) | instid1(VALU_DEP_1)
	v_mul_lo_u16 v2, v120, 10
	v_sub_nc_u16 v121, v3, v2
	s_delay_alu instid0(VALU_DEP_1) | instskip(NEXT) | instid1(VALU_DEP_1)
	v_lshlrev_b16 v2, 1, v121
	v_and_b32_e32 v2, 0xffff, v2
	s_delay_alu instid0(VALU_DEP_1)
	v_lshlrev_b32_e32 v2, 4, v2
	s_clause 0x1
	global_load_b128 v[65:68], v2, s[10:11]
	global_load_b128 v[81:84], v2, s[10:11] offset:16
	scratch_store_b128 off, v[57:60], off offset:1800 ; 16-byte Folded Spill
	s_waitcnt vmcnt(1)
	scratch_store_b128 off, v[65:68], off offset:1816 ; 16-byte Folded Spill
	s_waitcnt vmcnt(0)
	scratch_store_b128 off, v[81:84], off offset:1768 ; 16-byte Folded Spill
	ds_load_b128 v[2:5], v134 offset:20736
	ds_load_b128 v[57:60], v134 offset:22032
	s_waitcnt lgkmcnt(1)
	v_mul_f64 v[36:37], v[4:5], v[67:68]
	s_delay_alu instid0(VALU_DEP_1) | instskip(SKIP_1) | instid1(VALU_DEP_1)
	v_fma_f64 v[75:76], v[2:3], v[65:66], -v[36:37]
	v_mul_f64 v[2:3], v[2:3], v[67:68]
	v_fma_f64 v[77:78], v[4:5], v[65:66], v[2:3]
	ds_load_b128 v[2:5], v134 offset:33696
	ds_load_b128 v[67:70], v134 offset:34992
	v_add_co_u32 v65, null, 0x2d9, v154
	s_waitcnt lgkmcnt(1)
	v_mul_f64 v[36:37], v[4:5], v[83:84]
	s_delay_alu instid0(VALU_DEP_1) | instskip(SKIP_3) | instid1(VALU_DEP_2)
	v_fma_f64 v[79:80], v[2:3], v[81:82], -v[36:37]
	v_mul_f64 v[2:3], v[2:3], v[83:84]
	v_add_co_u32 v37, null, 0x237, v154
	v_add_co_u32 v83, null, 0x288, v154
	v_and_b32_e32 v106, 0xffff, v37
	s_delay_alu instid0(VALU_DEP_2) | instskip(SKIP_1) | instid1(VALU_DEP_3)
	v_and_b32_e32 v105, 0xffff, v83
	v_fma_f64 v[81:82], v[4:5], v[81:82], v[2:3]
	v_mul_u32_u24_e32 v2, 0xcccd, v106
	s_delay_alu instid0(VALU_DEP_1) | instskip(NEXT) | instid1(VALU_DEP_1)
	v_lshrrev_b32_e32 v36, 19, v2
	v_mul_lo_u16 v2, v36, 10
	s_delay_alu instid0(VALU_DEP_1) | instskip(NEXT) | instid1(VALU_DEP_1)
	v_sub_nc_u16 v122, v37, v2
	v_lshlrev_b16 v2, 1, v122
	s_delay_alu instid0(VALU_DEP_1) | instskip(NEXT) | instid1(VALU_DEP_1)
	v_and_b32_e32 v2, 0xffff, v2
	v_lshlrev_b32_e32 v2, 4, v2
	s_clause 0x1
	global_load_b128 v[92:95], v2, s[10:11]
	global_load_b128 v[88:91], v2, s[10:11] offset:16
	s_waitcnt vmcnt(1)
	v_mul_f64 v[2:3], v[59:60], v[94:95]
	s_delay_alu instid0(VALU_DEP_1) | instskip(SKIP_1) | instid1(VALU_DEP_1)
	v_fma_f64 v[84:85], v[57:58], v[92:93], -v[2:3]
	v_mul_f64 v[2:3], v[57:58], v[94:95]
	v_fma_f64 v[86:87], v[59:60], v[92:93], v[2:3]
	s_waitcnt vmcnt(0)
	v_mov_b32_e32 v57, v88
	v_dual_mov_b32 v59, v90 :: v_dual_mov_b32 v60, v91
	v_mov_b32_e32 v58, v89
	s_waitcnt lgkmcnt(0)
	s_delay_alu instid0(VALU_DEP_2) | instskip(SKIP_3) | instid1(VALU_DEP_1)
	v_mul_f64 v[2:3], v[69:70], v[59:60]
	scratch_store_b128 off, v[57:60], off offset:1864 ; 16-byte Folded Spill
	v_fma_f64 v[88:89], v[67:68], v[57:58], -v[2:3]
	v_mul_f64 v[2:3], v[67:68], v[59:60]
	v_fma_f64 v[66:67], v[69:70], v[57:58], v[2:3]
	v_mul_u32_u24_e32 v2, 0xcccd, v105
	s_delay_alu instid0(VALU_DEP_1) | instskip(NEXT) | instid1(VALU_DEP_1)
	v_lshrrev_b32_e32 v70, 19, v2
	v_mul_lo_u16 v2, v70, 10
	s_delay_alu instid0(VALU_DEP_1) | instskip(NEXT) | instid1(VALU_DEP_1)
	v_sub_nc_u16 v216, v83, v2
	v_lshlrev_b16 v2, 1, v216
	s_delay_alu instid0(VALU_DEP_1) | instskip(NEXT) | instid1(VALU_DEP_1)
	v_and_b32_e32 v2, 0xffff, v2
	v_lshlrev_b32_e32 v2, 4, v2
	global_load_b128 v[96:99], v2, s[10:11]
	scratch_store_b128 off, v[92:95], off offset:1848 ; 16-byte Folded Spill
	global_load_b128 v[92:95], v2, s[10:11] offset:16
	s_waitcnt vmcnt(1)
	scratch_store_b128 off, v[96:99], off offset:1880 ; 16-byte Folded Spill
	ds_load_b128 v[2:5], v134 offset:23328
	ds_load_b128 v[57:60], v134 offset:24624
	s_waitcnt lgkmcnt(1)
	v_mul_f64 v[68:69], v[4:5], v[98:99]
	s_delay_alu instid0(VALU_DEP_1) | instskip(SKIP_1) | instid1(VALU_DEP_1)
	v_fma_f64 v[68:69], v[2:3], v[96:97], -v[68:69]
	v_mul_f64 v[2:3], v[2:3], v[98:99]
	v_fma_f64 v[90:91], v[4:5], v[96:97], v[2:3]
	ds_load_b128 v[2:5], v134 offset:36288
	ds_load_b128 v[123:126], v134 offset:37584
	s_waitcnt vmcnt(0)
	v_mov_b32_e32 v97, v95
	v_dual_mov_b32 v96, v94 :: v_dual_mov_b32 v95, v93
	v_mov_b32_e32 v94, v92
	s_waitcnt lgkmcnt(1)
	s_delay_alu instid0(VALU_DEP_2) | instskip(NEXT) | instid1(VALU_DEP_1)
	v_mul_f64 v[92:93], v[4:5], v[96:97]
	v_fma_f64 v[92:93], v[2:3], v[94:95], -v[92:93]
	v_mul_f64 v[2:3], v[2:3], v[96:97]
	s_delay_alu instid0(VALU_DEP_1) | instskip(SKIP_1) | instid1(VALU_DEP_1)
	v_fma_f64 v[2:3], v[4:5], v[94:95], v[2:3]
	v_and_b32_e32 v5, 0xffff, v65
	v_mul_u32_u24_e32 v4, 0xcccd, v5
	v_mov_b32_e32 v104, v5
	s_delay_alu instid0(VALU_DEP_2) | instskip(NEXT) | instid1(VALU_DEP_1)
	v_lshrrev_b32_e32 v217, 19, v4
	v_mul_lo_u16 v4, v217, 10
	s_delay_alu instid0(VALU_DEP_1) | instskip(NEXT) | instid1(VALU_DEP_1)
	v_sub_nc_u16 v218, v65, v4
	v_lshlrev_b16 v4, 1, v218
	s_delay_alu instid0(VALU_DEP_1) | instskip(NEXT) | instid1(VALU_DEP_1)
	v_and_b32_e32 v4, 0xffff, v4
	v_lshlrev_b32_e32 v4, 4, v4
	global_load_b128 v[100:103], v4, s[10:11]
	scratch_store_b128 off, v[94:97], off offset:1832 ; 16-byte Folded Spill
	global_load_b128 v[96:99], v4, s[10:11] offset:16
	s_waitcnt vmcnt(1)
	scratch_store_b128 off, v[100:103], off offset:1896 ; 16-byte Folded Spill
	v_mul_f64 v[4:5], v[59:60], v[102:103]
	s_delay_alu instid0(VALU_DEP_1) | instskip(SKIP_2) | instid1(VALU_DEP_2)
	v_fma_f64 v[4:5], v[57:58], v[100:101], -v[4:5]
	v_mul_f64 v[57:58], v[57:58], v[102:103]
	v_add_f64 v[102:103], v[12:13], v[22:23]
	v_fma_f64 v[94:95], v[59:60], v[100:101], v[57:58]
	s_waitcnt vmcnt(0)
	v_mov_b32_e32 v101, v99
	v_dual_mov_b32 v100, v98 :: v_dual_mov_b32 v99, v97
	v_mov_b32_e32 v98, v96
	s_waitcnt lgkmcnt(0)
	s_delay_alu instid0(VALU_DEP_2) | instskip(SKIP_4) | instid1(VALU_DEP_2)
	v_mul_f64 v[57:58], v[125:126], v[100:101]
	scratch_store_b128 off, v[98:101], off offset:1912 ; 16-byte Folded Spill
	v_fma_f64 v[96:97], v[123:124], v[98:99], -v[57:58]
	v_mul_f64 v[57:58], v[123:124], v[100:101]
	v_add_f64 v[100:101], v[8:9], v[16:17]
	v_fma_f64 v[98:99], v[125:126], v[98:99], v[57:58]
	ds_load_b128 v[57:60], v134
	ds_load_b128 v[123:126], v134 offset:1296
	s_waitcnt lgkmcnt(1)
	v_fma_f64 v[100:101], v[100:101], -0.5, v[57:58]
	v_fma_f64 v[102:103], v[102:103], -0.5, v[59:60]
	v_add_f64 v[57:58], v[57:58], v[8:9]
	v_add_f64 v[7:8], v[8:9], -v[16:17]
	v_add_f64 v[59:60], v[59:60], v[12:13]
	v_add_f64 v[12:13], v[12:13], -v[22:23]
	s_delay_alu instid0(VALU_DEP_4) | instskip(NEXT) | instid1(VALU_DEP_4)
	v_add_f64 v[57:58], v[57:58], v[16:17]
	v_fma_f64 v[129:130], v[7:8], s[2:3], v[102:103]
	v_fma_f64 v[133:134], v[7:8], s[8:9], v[102:103]
	v_add_f64 v[7:8], v[10:11], v[18:19]
	v_fma_f64 v[127:128], v[12:13], s[8:9], v[100:101]
	v_fma_f64 v[131:132], v[12:13], s[2:3], v[100:101]
	s_waitcnt lgkmcnt(0)
	v_add_f64 v[16:17], v[123:124], v[10:11]
	v_add_f64 v[102:103], v[20:21], -v[24:25]
	v_add_f64 v[59:60], v[59:60], v[22:23]
	v_fma_f64 v[12:13], v[7:8], -0.5, v[123:124]
	v_add_f64 v[7:8], v[20:21], v[24:25]
	s_delay_alu instid0(VALU_DEP_1)
	v_fma_f64 v[100:101], v[7:8], -0.5, v[125:126]
	v_add_f64 v[7:8], v[125:126], v[20:21]
	v_add_f64 v[20:21], v[16:17], v[18:19]
	v_add_f64 v[18:19], v[10:11], -v[18:19]
	v_fma_f64 v[16:17], v[102:103], s[2:3], v[12:13]
	ds_load_b128 v[123:126], v152 offset:2592
	ds_load_b128 v[135:138], v152 offset:3888
	;; [unrolled: 1-line block ×8, first 2 shown]
	s_waitcnt lgkmcnt(6)
	v_add_f64 v[109:110], v[135:136], v[32:33]
	v_add_f64 v[22:23], v[7:8], v[24:25]
	v_fma_f64 v[8:9], v[102:103], s[8:9], v[12:13]
	v_add_f64 v[12:13], v[14:15], v[28:29]
	v_fma_f64 v[10:11], v[18:19], s[2:3], v[100:101]
	v_fma_f64 v[18:19], v[18:19], s[8:9], v[100:101]
	v_add_f64 v[24:25], v[123:124], v[14:15]
	s_delay_alu instid0(VALU_DEP_4) | instskip(SKIP_2) | instid1(VALU_DEP_4)
	v_fma_f64 v[100:101], v[12:13], -0.5, v[123:124]
	v_add_f64 v[12:13], v[26:27], v[30:31]
	v_add_f64 v[123:124], v[109:110], v[38:39]
	v_add_f64 v[24:25], v[24:25], v[28:29]
	s_delay_alu instid0(VALU_DEP_3) | instskip(SKIP_1) | instid1(VALU_DEP_1)
	v_fma_f64 v[102:103], v[12:13], -0.5, v[125:126]
	v_add_f64 v[12:13], v[125:126], v[26:27]
	v_add_f64 v[26:27], v[12:13], v[30:31]
	v_add_f64 v[30:31], v[14:15], -v[28:29]
	v_fma_f64 v[12:13], v[107:108], s[8:9], v[100:101]
	v_fma_f64 v[28:29], v[107:108], s[2:3], v[100:101]
	v_add_f64 v[100:101], v[32:33], v[38:39]
	v_add_f64 v[107:108], v[137:138], v[34:35]
	v_add_f64 v[32:33], v[32:33], -v[38:39]
	s_waitcnt lgkmcnt(5)
	v_add_f64 v[38:39], v[146:147], v[44:45]
	v_fma_f64 v[14:15], v[30:31], s[2:3], v[102:103]
	v_fma_f64 v[30:31], v[30:31], s[8:9], v[102:103]
	v_add_f64 v[102:103], v[34:35], v[40:41]
	v_fma_f64 v[100:101], v[100:101], -0.5, v[135:136]
	v_add_f64 v[34:35], v[34:35], -v[40:41]
	v_add_f64 v[125:126], v[107:108], v[40:41]
	v_add_f64 v[40:41], v[144:145], v[42:43]
	v_fma_f64 v[102:103], v[102:103], -0.5, v[137:138]
	s_delay_alu instid0(VALU_DEP_4)
	v_fma_f64 v[136:137], v[34:35], s[8:9], v[100:101]
	v_fma_f64 v[140:141], v[34:35], s[2:3], v[100:101]
	v_add_f64 v[34:35], v[44:45], v[0:1]
	v_add_f64 v[44:45], v[44:45], -v[0:1]
	v_fma_f64 v[138:139], v[32:33], s[2:3], v[102:103]
	v_fma_f64 v[142:143], v[32:33], s[8:9], v[102:103]
	v_add_f64 v[32:33], v[42:43], v[54:55]
	v_fma_f64 v[34:35], v[34:35], -0.5, v[146:147]
	v_add_f64 v[146:147], v[38:39], v[0:1]
	v_add_f64 v[0:1], v[42:43], -v[54:55]
	s_waitcnt lgkmcnt(4)
	v_add_f64 v[38:39], v[148:149], v[61:62]
	v_fma_f64 v[32:33], v[32:33], -0.5, v[144:145]
	v_add_f64 v[144:145], v[40:41], v[54:55]
	v_add_f64 v[40:41], v[63:64], -v[73:74]
	v_fma_f64 v[158:159], v[0:1], s[8:9], v[34:35]
	s_delay_alu instid0(VALU_DEP_4)
	v_fma_f64 v[42:43], v[44:45], s[8:9], v[32:33]
	v_fma_f64 v[156:157], v[44:45], s[2:3], v[32:33]
	;; [unrolled: 1-line block ×3, first 2 shown]
	v_add_f64 v[0:1], v[61:62], v[71:72]
	v_add_f64 v[32:33], v[63:64], v[73:74]
	;; [unrolled: 1-line block ×3, first 2 shown]
	s_delay_alu instid0(VALU_DEP_3) | instskip(NEXT) | instid1(VALU_DEP_3)
	v_fma_f64 v[0:1], v[0:1], -0.5, v[148:149]
	v_fma_f64 v[32:33], v[32:33], -0.5, v[150:151]
	s_delay_alu instid0(VALU_DEP_3)
	v_add_f64 v[150:151], v[34:35], v[73:74]
	v_add_f64 v[34:35], v[61:62], -v[71:72]
	v_add_f64 v[148:149], v[38:39], v[71:72]
	s_waitcnt lgkmcnt(3)
	v_add_f64 v[38:39], v[168:169], v[75:76]
	v_fma_f64 v[160:161], v[40:41], s[8:9], v[0:1]
	v_fma_f64 v[164:165], v[40:41], s[2:3], v[0:1]
	v_add_f64 v[0:1], v[75:76], v[79:80]
	v_add_f64 v[40:41], v[77:78], -v[81:82]
	v_fma_f64 v[162:163], v[34:35], s[2:3], v[32:33]
	v_fma_f64 v[166:167], v[34:35], s[8:9], v[32:33]
	v_add_f64 v[32:33], v[77:78], v[81:82]
	v_add_f64 v[34:35], v[170:171], v[77:78]
	v_fma_f64 v[0:1], v[0:1], -0.5, v[168:169]
	v_add_f64 v[168:169], v[38:39], v[79:80]
	s_waitcnt lgkmcnt(2)
	v_add_f64 v[38:39], v[172:173], v[84:85]
	v_fma_f64 v[32:33], v[32:33], -0.5, v[170:171]
	v_add_f64 v[170:171], v[34:35], v[81:82]
	v_add_f64 v[34:35], v[75:76], -v[79:80]
	v_fma_f64 v[176:177], v[40:41], s[8:9], v[0:1]
	v_fma_f64 v[180:181], v[40:41], s[2:3], v[0:1]
	v_add_f64 v[0:1], v[84:85], v[88:89]
	v_add_f64 v[40:41], v[86:87], -v[66:67]
	v_fma_f64 v[178:179], v[34:35], s[2:3], v[32:33]
	v_fma_f64 v[182:183], v[34:35], s[8:9], v[32:33]
	v_add_f64 v[32:33], v[86:87], v[66:67]
	v_add_f64 v[34:35], v[174:175], v[86:87]
	v_fma_f64 v[0:1], v[0:1], -0.5, v[172:173]
	v_add_f64 v[172:173], v[38:39], v[88:89]
	s_waitcnt lgkmcnt(1)
	v_add_f64 v[38:39], v[192:193], v[68:69]
	v_fma_f64 v[32:33], v[32:33], -0.5, v[174:175]
	v_add_f64 v[174:175], v[34:35], v[66:67]
	v_add_f64 v[34:35], v[84:85], -v[88:89]
	v_fma_f64 v[184:185], v[40:41], s[8:9], v[0:1]
	v_fma_f64 v[188:189], v[40:41], s[2:3], v[0:1]
	v_add_f64 v[0:1], v[68:69], v[92:93]
	v_add_f64 v[40:41], v[90:91], -v[2:3]
	v_fma_f64 v[186:187], v[34:35], s[2:3], v[32:33]
	v_fma_f64 v[190:191], v[34:35], s[8:9], v[32:33]
	v_add_f64 v[32:33], v[90:91], v[2:3]
	v_add_f64 v[34:35], v[194:195], v[90:91]
	v_fma_f64 v[0:1], v[0:1], -0.5, v[192:193]
	v_add_f64 v[192:193], v[38:39], v[92:93]
	v_add_f64 v[38:39], v[94:95], -v[98:99]
	v_fma_f64 v[32:33], v[32:33], -0.5, v[194:195]
	v_add_f64 v[194:195], v[34:35], v[2:3]
	v_add_f64 v[2:3], v[68:69], -v[92:93]
	s_waitcnt lgkmcnt(0)
	v_add_f64 v[34:35], v[196:197], v[4:5]
	v_fma_f64 v[200:201], v[40:41], s[8:9], v[0:1]
	v_fma_f64 v[204:205], v[40:41], s[2:3], v[0:1]
	v_add_f64 v[0:1], v[4:5], v[96:97]
	v_add_f64 v[4:5], v[4:5], -v[96:97]
	v_fma_f64 v[202:203], v[2:3], s[2:3], v[32:33]
	v_fma_f64 v[206:207], v[2:3], s[8:9], v[32:33]
	v_add_f64 v[2:3], v[94:95], v[98:99]
	v_add_f64 v[32:33], v[198:199], v[94:95]
	v_fma_f64 v[0:1], v[0:1], -0.5, v[196:197]
	v_add_f64 v[196:197], v[34:35], v[96:97]
	s_delay_alu instid0(VALU_DEP_4) | instskip(NEXT) | instid1(VALU_DEP_4)
	v_fma_f64 v[2:3], v[2:3], -0.5, v[198:199]
	v_add_f64 v[198:199], v[32:33], v[98:99]
	s_delay_alu instid0(VALU_DEP_4) | instskip(SKIP_2) | instid1(VALU_DEP_1)
	v_fma_f64 v[208:209], v[38:39], s[8:9], v[0:1]
	v_fma_f64 v[212:213], v[38:39], s[2:3], v[0:1]
	v_and_b32_e32 v0, 0xffff, v48
	v_mul_u32_u24_e32 v0, 30, v0
	v_fma_f64 v[210:211], v[4:5], s[2:3], v[2:3]
	v_fma_f64 v[214:215], v[4:5], s[8:9], v[2:3]
	s_delay_alu instid0(VALU_DEP_3)
	v_add_lshl_u32 v0, v0, v49, 4
	scratch_store_b32 off, v0, off offset:1700 ; 4-byte Folded Spill
	s_waitcnt_vscnt null, 0x0
	s_barrier
	buffer_gl0_inv
	ds_store_b128 v0, v[57:60]
	ds_store_b128 v0, v[127:130] offset:160
	ds_store_b128 v0, v[131:134] offset:320
	v_and_b32_e32 v0, 0xffff, v50
	s_delay_alu instid0(VALU_DEP_1) | instskip(NEXT) | instid1(VALU_DEP_1)
	v_mul_u32_u24_e32 v0, 30, v0
	v_add_lshl_u32 v0, v0, v51, 4
	scratch_store_b32 off, v0, off offset:1696 ; 4-byte Folded Spill
	ds_store_b128 v0, v[20:23]
	ds_store_b128 v0, v[8:11] offset:160
	ds_store_b128 v0, v[16:19] offset:320
	v_and_b32_e32 v0, 0xffff, v52
	s_delay_alu instid0(VALU_DEP_1) | instskip(NEXT) | instid1(VALU_DEP_1)
	v_mul_u32_u24_e32 v0, 30, v0
	v_add_lshl_u32 v0, v0, v53, 4
	scratch_store_b32 off, v0, off offset:1692 ; 4-byte Folded Spill
	ds_store_b128 v0, v[24:27]
	ds_store_b128 v0, v[12:15] offset:160
	ds_store_b128 v0, v[28:31] offset:320
	v_mad_u16 v0, v111, 30, v114
	s_delay_alu instid0(VALU_DEP_1) | instskip(NEXT) | instid1(VALU_DEP_1)
	v_and_b32_e32 v0, 0xffff, v0
	v_lshlrev_b32_e32 v0, 4, v0
	scratch_store_b32 off, v0, off offset:1688 ; 4-byte Folded Spill
	ds_store_b128 v0, v[123:126]
	ds_store_b128 v0, v[136:139] offset:160
	ds_store_b128 v0, v[140:143] offset:320
	v_mad_u16 v0, v115, 30, v116
	s_delay_alu instid0(VALU_DEP_1) | instskip(NEXT) | instid1(VALU_DEP_1)
	v_and_b32_e32 v0, 0xffff, v0
	v_lshlrev_b32_e32 v0, 4, v0
	;; [unrolled: 8-line block ×3, first 2 shown]
	scratch_store_b32 off, v0, off offset:1680 ; 4-byte Folded Spill
	ds_store_b128 v0, v[148:151]
	ds_store_b128 v0, v[160:163] offset:160
	ds_store_b128 v0, v[164:167] offset:320
	v_mad_u16 v0, v120, 30, v121
	v_dual_mov_b32 v149, v221 :: v_dual_mov_b32 v150, v222
	s_delay_alu instid0(VALU_DEP_2) | instskip(NEXT) | instid1(VALU_DEP_1)
	v_dual_mov_b32 v151, v223 :: v_dual_and_b32 v0, 0xffff, v0
	v_lshlrev_b32_e32 v0, 4, v0
	scratch_store_b32 off, v0, off offset:1676 ; 4-byte Folded Spill
	ds_store_b128 v0, v[168:171]
	ds_store_b128 v0, v[176:179] offset:160
	ds_store_b128 v0, v[180:183] offset:320
	v_mad_u16 v0, v36, 30, v122
	v_mov_b32_e32 v176, v219
	s_delay_alu instid0(VALU_DEP_2) | instskip(NEXT) | instid1(VALU_DEP_1)
	v_and_b32_e32 v0, 0xffff, v0
	v_lshlrev_b32_e32 v0, 4, v0
	scratch_store_b32 off, v0, off offset:1672 ; 4-byte Folded Spill
	ds_store_b128 v0, v[172:175]
	ds_store_b128 v0, v[184:187] offset:160
	ds_store_b128 v0, v[188:191] offset:320
	v_mad_u16 v0, v70, 30, v216
	v_dual_mov_b32 v175, v220 :: v_dual_mov_b32 v190, v155
	v_mov_b32_e32 v185, v154
	s_delay_alu instid0(VALU_DEP_3) | instskip(SKIP_1) | instid1(VALU_DEP_3)
	v_dual_mov_b32 v191, v149 :: v_dual_and_b32 v0, 0xffff, v0
	v_mov_b32_e32 v174, v154
	v_lshlrev_b32_e32 v156, 5, v185
	s_delay_alu instid0(VALU_DEP_3)
	v_lshlrev_b32_e32 v0, 4, v0
	scratch_store_b32 off, v0, off offset:1668 ; 4-byte Folded Spill
	ds_store_b128 v0, v[192:195]
	ds_store_b128 v0, v[200:203] offset:160
	ds_store_b128 v0, v[204:207] offset:320
	v_mad_u16 v0, v217, 30, v218
	s_delay_alu instid0(VALU_DEP_1) | instskip(NEXT) | instid1(VALU_DEP_1)
	v_and_b32_e32 v0, 0xffff, v0
	v_lshlrev_b32_e32 v0, 4, v0
	scratch_store_b32 off, v0, off offset:1664 ; 4-byte Folded Spill
	ds_store_b128 v0, v[196:199]
	ds_store_b128 v0, v[208:211] offset:160
	ds_store_b128 v0, v[212:215] offset:320
	v_mul_lo_u16 v0, 0x89, v46
	s_waitcnt lgkmcnt(0)
	s_waitcnt_vscnt null, 0x0
	s_barrier
	buffer_gl0_inv
	v_lshrrev_b16 v36, 12, v0
	s_delay_alu instid0(VALU_DEP_1) | instskip(NEXT) | instid1(VALU_DEP_1)
	v_mul_lo_u16 v0, v36, 30
	v_sub_nc_u16 v0, v113, v0
	s_delay_alu instid0(VALU_DEP_1) | instskip(NEXT) | instid1(VALU_DEP_1)
	v_and_b32_e32 v82, 0xff, v0
	v_lshlrev_b32_e32 v0, 5, v82
	s_clause 0x1
	global_load_b128 v[16:19], v0, s[10:11] offset:320
	global_load_b128 v[20:23], v0, s[10:11] offset:336
	s_waitcnt vmcnt(1)
	scratch_store_b128 off, v[16:19], off offset:1472 ; 16-byte Folded Spill
	ds_load_b128 v[8:11], v152 offset:12960
	ds_load_b128 v[12:15], v152 offset:14256
	s_waitcnt lgkmcnt(1)
	v_mul_f64 v[0:1], v[10:11], v[18:19]
	v_mul_f64 v[2:3], v[8:9], v[18:19]
	s_delay_alu instid0(VALU_DEP_2) | instskip(NEXT) | instid1(VALU_DEP_2)
	v_fma_f64 v[0:1], v[8:9], v[16:17], -v[0:1]
	v_fma_f64 v[2:3], v[10:11], v[16:17], v[2:3]
	ds_load_b128 v[8:11], v152 offset:25920
	ds_load_b128 v[16:19], v152 offset:27216
	s_waitcnt vmcnt(0)
	scratch_store_b128 off, v[20:23], off offset:1440 ; 16-byte Folded Spill
	s_waitcnt lgkmcnt(1)
	v_mul_f64 v[4:5], v[10:11], v[22:23]
	s_delay_alu instid0(VALU_DEP_1) | instskip(SKIP_1) | instid1(VALU_DEP_1)
	v_fma_f64 v[4:5], v[8:9], v[20:21], -v[4:5]
	v_mul_f64 v[7:8], v[8:9], v[22:23]
	v_fma_f64 v[20:21], v[10:11], v[20:21], v[7:8]
	v_mul_lo_u16 v7, 0x89, v47
	s_delay_alu instid0(VALU_DEP_1) | instskip(NEXT) | instid1(VALU_DEP_1)
	v_lshrrev_b16 v131, 12, v7
	v_mul_lo_u16 v7, v131, 30
	s_delay_alu instid0(VALU_DEP_1) | instskip(NEXT) | instid1(VALU_DEP_1)
	v_sub_nc_u16 v7, v149, v7
	v_and_b32_e32 v132, 0xff, v7
	s_delay_alu instid0(VALU_DEP_1)
	v_lshlrev_b32_e32 v7, 5, v132
	s_clause 0x1
	global_load_b128 v[32:35], v7, s[10:11] offset:320
	global_load_b128 v[28:31], v7, s[10:11] offset:336
	s_waitcnt vmcnt(1)
	v_mul_f64 v[7:8], v[14:15], v[34:35]
	s_delay_alu instid0(VALU_DEP_1)
	v_fma_f64 v[24:25], v[12:13], v[32:33], -v[7:8]
	v_mul_f64 v[7:8], v[12:13], v[34:35]
	s_waitcnt vmcnt(0)
	v_mov_b32_e32 v9, v28
	v_dual_mov_b32 v11, v30 :: v_dual_mov_b32 v12, v31
	v_mov_b32_e32 v10, v29
	scratch_store_b128 off, v[9:12], off offset:1536 ; 16-byte Folded Spill
	v_fma_f64 v[26:27], v[14:15], v[32:33], v[7:8]
	s_waitcnt lgkmcnt(0)
	v_mul_f64 v[7:8], v[18:19], v[11:12]
	s_delay_alu instid0(VALU_DEP_1) | instskip(SKIP_1) | instid1(VALU_DEP_1)
	v_fma_f64 v[28:29], v[16:17], v[9:10], -v[7:8]
	v_mul_f64 v[7:8], v[16:17], v[11:12]
	v_fma_f64 v[30:31], v[18:19], v[9:10], v[7:8]
	v_mul_lo_u16 v7, 0x89, v150
	s_delay_alu instid0(VALU_DEP_1) | instskip(NEXT) | instid1(VALU_DEP_1)
	v_lshrrev_b16 v133, 12, v7
	v_mul_lo_u16 v7, v133, 30
	s_delay_alu instid0(VALU_DEP_1) | instskip(NEXT) | instid1(VALU_DEP_1)
	v_sub_nc_u16 v7, v56, v7
	v_and_b32_e32 v134, 0xff, v7
	s_delay_alu instid0(VALU_DEP_1)
	v_lshlrev_b32_e32 v7, 5, v134
	s_clause 0x1
	global_load_b128 v[38:41], v7, s[10:11] offset:320
	global_load_b128 v[42:45], v7, s[10:11] offset:336
	scratch_store_b128 off, v[32:35], off offset:1520 ; 16-byte Folded Spill
	s_waitcnt vmcnt(1)
	scratch_store_b128 off, v[38:41], off offset:1488 ; 16-byte Folded Spill
	s_waitcnt vmcnt(0)
	scratch_store_b128 off, v[42:45], off offset:1456 ; 16-byte Folded Spill
	ds_load_b128 v[8:11], v152 offset:15552
	ds_load_b128 v[12:15], v152 offset:16848
	s_waitcnt lgkmcnt(1)
	v_mul_f64 v[16:17], v[10:11], v[40:41]
	s_delay_alu instid0(VALU_DEP_1) | instskip(SKIP_1) | instid1(VALU_DEP_1)
	v_fma_f64 v[32:33], v[8:9], v[38:39], -v[16:17]
	v_mul_f64 v[7:8], v[8:9], v[40:41]
	v_fma_f64 v[34:35], v[10:11], v[38:39], v[7:8]
	ds_load_b128 v[8:11], v152 offset:28512
	ds_load_b128 v[16:19], v152 offset:29808
	s_waitcnt lgkmcnt(1)
	v_mul_f64 v[22:23], v[10:11], v[44:45]
	s_delay_alu instid0(VALU_DEP_1) | instskip(SKIP_1) | instid1(VALU_DEP_1)
	v_fma_f64 v[38:39], v[8:9], v[42:43], -v[22:23]
	v_mul_f64 v[7:8], v[8:9], v[44:45]
	v_fma_f64 v[40:41], v[10:11], v[42:43], v[7:8]
	v_mul_u32_u24_e32 v7, 0x8889, v112
	s_delay_alu instid0(VALU_DEP_1) | instskip(NEXT) | instid1(VALU_DEP_1)
	v_lshrrev_b32_e32 v135, 20, v7
	v_mul_lo_u16 v7, v135, 30
	s_delay_alu instid0(VALU_DEP_1) | instskip(NEXT) | instid1(VALU_DEP_1)
	v_sub_nc_u16 v136, v153, v7
	v_lshlrev_b16 v7, 5, v136
	s_delay_alu instid0(VALU_DEP_1) | instskip(NEXT) | instid1(VALU_DEP_1)
	v_and_b32_e32 v7, 0xffff, v7
	v_add_co_u32 v7, s28, s10, v7
	s_delay_alu instid0(VALU_DEP_1)
	v_add_co_ci_u32_e64 v8, null, s11, 0, s28
	s_clause 0x1
	global_load_b128 v[46:49], v[7:8], off offset:320
	global_load_b128 v[42:45], v[7:8], off offset:336
	s_waitcnt vmcnt(1)
	v_mul_f64 v[7:8], v[14:15], v[48:49]
	scratch_store_b128 off, v[46:49], off offset:1568 ; 16-byte Folded Spill
	s_waitcnt vmcnt(0)
	scratch_store_b128 off, v[42:45], off offset:1600 ; 16-byte Folded Spill
	v_fma_f64 v[54:55], v[12:13], v[46:47], -v[7:8]
	v_mul_f64 v[7:8], v[12:13], v[48:49]
	s_delay_alu instid0(VALU_DEP_1) | instskip(SKIP_2) | instid1(VALU_DEP_1)
	v_fma_f64 v[61:62], v[14:15], v[46:47], v[7:8]
	s_waitcnt lgkmcnt(0)
	v_mul_f64 v[7:8], v[18:19], v[44:45]
	v_fma_f64 v[63:64], v[16:17], v[42:43], -v[7:8]
	v_mul_f64 v[7:8], v[16:17], v[44:45]
	s_delay_alu instid0(VALU_DEP_1) | instskip(SKIP_1) | instid1(VALU_DEP_1)
	v_fma_f64 v[66:67], v[18:19], v[42:43], v[7:8]
	v_mul_u32_u24_e32 v7, 0x8889, v118
	v_lshrrev_b32_e32 v137, 20, v7
	s_delay_alu instid0(VALU_DEP_1) | instskip(NEXT) | instid1(VALU_DEP_1)
	v_mul_lo_u16 v7, v137, 30
	v_sub_nc_u16 v138, v175, v7
	s_delay_alu instid0(VALU_DEP_1) | instskip(NEXT) | instid1(VALU_DEP_1)
	v_lshlrev_b16 v7, 5, v138
	v_and_b32_e32 v7, 0xffff, v7
	s_delay_alu instid0(VALU_DEP_1) | instskip(NEXT) | instid1(VALU_DEP_1)
	v_add_co_u32 v7, s28, s10, v7
	v_add_co_ci_u32_e64 v8, null, s11, 0, s28
	s_clause 0x1
	global_load_b128 v[46:49], v[7:8], off offset:320
	global_load_b128 v[42:45], v[7:8], off offset:336
	s_waitcnt vmcnt(1)
	scratch_store_b128 off, v[46:49], off offset:1552 ; 16-byte Folded Spill
	s_waitcnt vmcnt(0)
	scratch_store_b128 off, v[42:45], off offset:1504 ; 16-byte Folded Spill
	ds_load_b128 v[8:11], v152 offset:18144
	ds_load_b128 v[12:15], v152 offset:19440
	s_waitcnt lgkmcnt(1)
	v_mul_f64 v[16:17], v[10:11], v[48:49]
	s_delay_alu instid0(VALU_DEP_1) | instskip(SKIP_1) | instid1(VALU_DEP_1)
	v_fma_f64 v[68:69], v[8:9], v[46:47], -v[16:17]
	v_mul_f64 v[7:8], v[8:9], v[48:49]
	v_fma_f64 v[70:71], v[10:11], v[46:47], v[7:8]
	ds_load_b128 v[8:11], v152 offset:31104
	ds_load_b128 v[16:19], v152 offset:32400
	s_waitcnt lgkmcnt(1)
	v_mul_f64 v[22:23], v[10:11], v[44:45]
	s_delay_alu instid0(VALU_DEP_1) | instskip(SKIP_1) | instid1(VALU_DEP_1)
	v_fma_f64 v[72:73], v[8:9], v[42:43], -v[22:23]
	v_mul_f64 v[7:8], v[8:9], v[44:45]
	v_fma_f64 v[74:75], v[10:11], v[42:43], v[7:8]
	v_mul_u32_u24_e32 v7, 0x8889, v6
	s_delay_alu instid0(VALU_DEP_1) | instskip(NEXT) | instid1(VALU_DEP_1)
	v_lshrrev_b32_e32 v139, 20, v7
	v_mul_lo_u16 v7, v139, 30
	s_delay_alu instid0(VALU_DEP_1) | instskip(NEXT) | instid1(VALU_DEP_1)
	v_sub_nc_u16 v140, v190, v7
	v_lshlrev_b16 v7, 5, v140
	s_delay_alu instid0(VALU_DEP_1) | instskip(SKIP_1) | instid1(VALU_DEP_2)
	v_and_b32_e32 v7, 0xffff, v7
	v_dual_mov_b32 v171, v104 :: v_dual_mov_b32 v104, v151
	v_add_co_u32 v7, s28, s10, v7
	s_delay_alu instid0(VALU_DEP_1)
	v_add_co_ci_u32_e64 v8, null, s11, 0, s28
	s_clause 0x1
	global_load_b128 v[200:203], v[7:8], off offset:320
	global_load_b128 v[42:45], v[7:8], off offset:336
	s_waitcnt vmcnt(1)
	v_mul_f64 v[7:8], v[14:15], v[202:203]
	s_waitcnt vmcnt(0)
	scratch_store_b128 off, v[42:45], off offset:1648 ; 16-byte Folded Spill
	v_fma_f64 v[76:77], v[12:13], v[200:201], -v[7:8]
	v_mul_f64 v[7:8], v[12:13], v[202:203]
	s_delay_alu instid0(VALU_DEP_1) | instskip(SKIP_2) | instid1(VALU_DEP_1)
	v_fma_f64 v[78:79], v[14:15], v[200:201], v[7:8]
	s_waitcnt lgkmcnt(0)
	v_mul_f64 v[7:8], v[18:19], v[44:45]
	v_fma_f64 v[80:81], v[16:17], v[42:43], -v[7:8]
	v_mul_f64 v[7:8], v[16:17], v[44:45]
	s_delay_alu instid0(VALU_DEP_1) | instskip(SKIP_1) | instid1(VALU_DEP_1)
	v_fma_f64 v[84:85], v[18:19], v[42:43], v[7:8]
	v_mul_u32_u24_e32 v7, 0x8889, v151
	v_lshrrev_b32_e32 v141, 20, v7
	s_delay_alu instid0(VALU_DEP_1) | instskip(NEXT) | instid1(VALU_DEP_1)
	v_mul_lo_u16 v7, v141, 30
	v_sub_nc_u16 v142, v176, v7
	s_delay_alu instid0(VALU_DEP_1) | instskip(NEXT) | instid1(VALU_DEP_1)
	v_lshlrev_b16 v7, 5, v142
	v_and_b32_e32 v7, 0xffff, v7
	s_delay_alu instid0(VALU_DEP_1) | instskip(NEXT) | instid1(VALU_DEP_1)
	v_add_co_u32 v7, s28, s10, v7
	v_add_co_ci_u32_e64 v8, null, s11, 0, s28
	s_clause 0x1
	global_load_b128 v[46:49], v[7:8], off offset:320
	global_load_b128 v[42:45], v[7:8], off offset:336
	s_waitcnt vmcnt(1)
	scratch_store_b128 off, v[46:49], off offset:1616 ; 16-byte Folded Spill
	s_waitcnt vmcnt(0)
	scratch_store_b128 off, v[42:45], off offset:1584 ; 16-byte Folded Spill
	ds_load_b128 v[8:11], v152 offset:20736
	ds_load_b128 v[12:15], v152 offset:22032
	s_waitcnt lgkmcnt(1)
	v_mul_f64 v[16:17], v[10:11], v[48:49]
	s_delay_alu instid0(VALU_DEP_1) | instskip(SKIP_1) | instid1(VALU_DEP_1)
	v_fma_f64 v[86:87], v[8:9], v[46:47], -v[16:17]
	v_mul_f64 v[7:8], v[8:9], v[48:49]
	v_fma_f64 v[88:89], v[10:11], v[46:47], v[7:8]
	ds_load_b128 v[8:11], v152 offset:33696
	ds_load_b128 v[16:19], v152 offset:34992
	s_waitcnt lgkmcnt(1)
	v_mul_f64 v[22:23], v[10:11], v[44:45]
	s_delay_alu instid0(VALU_DEP_1) | instskip(SKIP_1) | instid1(VALU_DEP_1)
	v_fma_f64 v[90:91], v[8:9], v[42:43], -v[22:23]
	v_mul_f64 v[7:8], v[8:9], v[44:45]
	v_fma_f64 v[92:93], v[10:11], v[42:43], v[7:8]
	v_mul_u32_u24_e32 v7, 0x8889, v106
	s_delay_alu instid0(VALU_DEP_1) | instskip(NEXT) | instid1(VALU_DEP_1)
	v_lshrrev_b32_e32 v143, 20, v7
	v_mul_lo_u16 v7, v143, 30
	s_delay_alu instid0(VALU_DEP_1) | instskip(NEXT) | instid1(VALU_DEP_1)
	v_sub_nc_u16 v144, v37, v7
	v_lshlrev_b16 v7, 5, v144
	s_delay_alu instid0(VALU_DEP_1) | instskip(NEXT) | instid1(VALU_DEP_1)
	v_and_b32_e32 v7, 0xffff, v7
	v_add_co_u32 v7, s28, s10, v7
	s_delay_alu instid0(VALU_DEP_1)
	v_add_co_ci_u32_e64 v8, null, s11, 0, s28
	s_clause 0x1
	global_load_b128 v[186:189], v[7:8], off offset:320
	global_load_b128 v[192:195], v[7:8], off offset:336
	s_waitcnt vmcnt(1)
	v_mul_f64 v[7:8], v[14:15], v[188:189]
	s_delay_alu instid0(VALU_DEP_1) | instskip(SKIP_1) | instid1(VALU_DEP_1)
	v_fma_f64 v[94:95], v[12:13], v[186:187], -v[7:8]
	v_mul_f64 v[7:8], v[12:13], v[188:189]
	v_fma_f64 v[96:97], v[14:15], v[186:187], v[7:8]
	s_waitcnt vmcnt(0) lgkmcnt(0)
	v_mul_f64 v[7:8], v[18:19], v[194:195]
	s_delay_alu instid0(VALU_DEP_1) | instskip(SKIP_1) | instid1(VALU_DEP_1)
	v_fma_f64 v[98:99], v[16:17], v[192:193], -v[7:8]
	v_mul_f64 v[7:8], v[16:17], v[194:195]
	v_fma_f64 v[100:101], v[18:19], v[192:193], v[7:8]
	v_mul_u32_u24_e32 v7, 0x8889, v105
	s_delay_alu instid0(VALU_DEP_1) | instskip(NEXT) | instid1(VALU_DEP_1)
	v_lshrrev_b32_e32 v145, 20, v7
	v_mul_lo_u16 v7, v145, 30
	s_delay_alu instid0(VALU_DEP_1) | instskip(NEXT) | instid1(VALU_DEP_1)
	v_sub_nc_u16 v146, v83, v7
	v_lshlrev_b16 v7, 5, v146
	s_delay_alu instid0(VALU_DEP_1) | instskip(NEXT) | instid1(VALU_DEP_1)
	v_and_b32_e32 v7, 0xffff, v7
	v_add_co_u32 v7, s28, s10, v7
	s_delay_alu instid0(VALU_DEP_1)
	v_add_co_ci_u32_e64 v8, null, s11, 0, s28
	s_clause 0x1
	global_load_b128 v[196:199], v[7:8], off offset:320
	global_load_b128 v[42:45], v[7:8], off offset:336
	s_waitcnt vmcnt(0)
	scratch_store_b128 off, v[42:45], off offset:1632 ; 16-byte Folded Spill
	ds_load_b128 v[8:11], v152 offset:23328
	ds_load_b128 v[12:15], v152 offset:24624
	s_waitcnt lgkmcnt(1)
	v_mul_f64 v[16:17], v[10:11], v[198:199]
	s_delay_alu instid0(VALU_DEP_1) | instskip(SKIP_1) | instid1(VALU_DEP_1)
	v_fma_f64 v[102:103], v[8:9], v[196:197], -v[16:17]
	v_mul_f64 v[7:8], v[8:9], v[198:199]
	v_fma_f64 v[107:108], v[10:11], v[196:197], v[7:8]
	ds_load_b128 v[8:11], v152 offset:36288
	ds_load_b128 v[16:19], v152 offset:37584
	s_waitcnt lgkmcnt(1)
	v_mul_f64 v[22:23], v[10:11], v[44:45]
	s_delay_alu instid0(VALU_DEP_1) | instskip(SKIP_1) | instid1(VALU_DEP_1)
	v_fma_f64 v[109:110], v[8:9], v[42:43], -v[22:23]
	v_mul_f64 v[7:8], v[8:9], v[44:45]
	v_fma_f64 v[114:115], v[10:11], v[42:43], v[7:8]
	v_mul_u32_u24_e32 v7, 0x8889, v171
	s_delay_alu instid0(VALU_DEP_1) | instskip(NEXT) | instid1(VALU_DEP_1)
	v_lshrrev_b32_e32 v147, 20, v7
	v_mul_lo_u16 v7, v147, 30
	s_delay_alu instid0(VALU_DEP_1) | instskip(NEXT) | instid1(VALU_DEP_1)
	v_sub_nc_u16 v148, v65, v7
	v_lshlrev_b16 v7, 5, v148
	s_delay_alu instid0(VALU_DEP_1) | instskip(NEXT) | instid1(VALU_DEP_1)
	v_and_b32_e32 v7, 0xffff, v7
	v_add_co_u32 v7, s28, s10, v7
	s_delay_alu instid0(VALU_DEP_1)
	v_add_co_ci_u32_e64 v8, null, s11, 0, s28
	s_clause 0x1
	global_load_b128 v[177:180], v[7:8], off offset:320
	global_load_b128 v[181:184], v[7:8], off offset:336
	s_waitcnt vmcnt(1)
	v_mul_f64 v[7:8], v[14:15], v[179:180]
	s_delay_alu instid0(VALU_DEP_1) | instskip(SKIP_1) | instid1(VALU_DEP_1)
	v_fma_f64 v[123:124], v[12:13], v[177:178], -v[7:8]
	v_mul_f64 v[7:8], v[12:13], v[179:180]
	v_fma_f64 v[125:126], v[14:15], v[177:178], v[7:8]
	s_waitcnt vmcnt(0) lgkmcnt(0)
	v_mul_f64 v[7:8], v[18:19], v[183:184]
	s_delay_alu instid0(VALU_DEP_1) | instskip(SKIP_2) | instid1(VALU_DEP_2)
	v_fma_f64 v[127:128], v[16:17], v[181:182], -v[7:8]
	v_mul_f64 v[7:8], v[16:17], v[183:184]
	v_add_f64 v[16:17], v[0:1], v[4:5]
	v_fma_f64 v[129:130], v[18:19], v[181:182], v[7:8]
	ds_load_b128 v[8:11], v152
	ds_load_b128 v[12:15], v152 offset:1296
	ds_load_b128 v[46:49], v152 offset:2592
	;; [unrolled: 1-line block ×7, first 2 shown]
	s_waitcnt lgkmcnt(7)
	v_fma_f64 v[18:19], v[16:17], -0.5, v[8:9]
	v_add_f64 v[16:17], v[2:3], v[20:21]
	v_add_f64 v[7:8], v[8:9], v[0:1]
	v_add_f64 v[0:1], v[0:1], -v[4:5]
	s_delay_alu instid0(VALU_DEP_3)
	v_fma_f64 v[22:23], v[16:17], -0.5, v[10:11]
	v_add_f64 v[10:11], v[10:11], v[2:3]
	v_add_f64 v[2:3], v[2:3], -v[20:21]
	v_add_f64 v[42:43], v[7:8], v[4:5]
	s_waitcnt lgkmcnt(6)
	v_add_f64 v[4:5], v[14:15], v[26:27]
	v_add_f64 v[7:8], v[12:13], v[24:25]
	;; [unrolled: 1-line block ×3, first 2 shown]
	v_fma_f64 v[16:17], v[2:3], s[8:9], v[18:19]
	v_fma_f64 v[20:21], v[2:3], s[2:3], v[18:19]
	;; [unrolled: 1-line block ×4, first 2 shown]
	v_add_f64 v[0:1], v[24:25], v[28:29]
	v_add_f64 v[2:3], v[26:27], v[30:31]
	v_add_f64 v[9:10], v[26:27], -v[30:31]
	s_delay_alu instid0(VALU_DEP_3) | instskip(NEXT) | instid1(VALU_DEP_3)
	v_fma_f64 v[0:1], v[0:1], -0.5, v[12:13]
	v_fma_f64 v[2:3], v[2:3], -0.5, v[14:15]
	v_add_f64 v[14:15], v[4:5], v[30:31]
	v_add_f64 v[4:5], v[24:25], -v[28:29]
	v_add_f64 v[12:13], v[7:8], v[28:29]
	s_waitcnt lgkmcnt(5)
	v_add_f64 v[7:8], v[46:47], v[32:33]
	v_fma_f64 v[24:25], v[9:10], s[8:9], v[0:1]
	v_fma_f64 v[28:29], v[9:10], s[2:3], v[0:1]
	v_add_f64 v[0:1], v[32:33], v[38:39]
	v_fma_f64 v[26:27], v[4:5], s[2:3], v[2:3]
	v_fma_f64 v[30:31], v[4:5], s[8:9], v[2:3]
	v_add_f64 v[2:3], v[34:35], v[40:41]
	v_add_f64 v[4:5], v[48:49], v[34:35]
	v_add_f64 v[9:10], v[34:35], -v[40:41]
	v_add_f64 v[34:35], v[107:108], -v[114:115]
	v_fma_f64 v[0:1], v[0:1], -0.5, v[46:47]
	v_add_f64 v[46:47], v[7:8], v[38:39]
	s_waitcnt lgkmcnt(4)
	v_add_f64 v[7:8], v[50:51], v[54:55]
	v_fma_f64 v[2:3], v[2:3], -0.5, v[48:49]
	v_add_f64 v[48:49], v[4:5], v[40:41]
	v_add_f64 v[4:5], v[32:33], -v[38:39]
	v_add_f64 v[32:33], v[107:108], v[114:115]
	v_fma_f64 v[57:58], v[9:10], s[8:9], v[0:1]
	v_fma_f64 v[204:205], v[9:10], s[2:3], v[0:1]
	v_add_f64 v[0:1], v[54:55], v[63:64]
	v_add_f64 v[9:10], v[61:62], -v[66:67]
	v_fma_f64 v[59:60], v[4:5], s[2:3], v[2:3]
	v_fma_f64 v[206:207], v[4:5], s[8:9], v[2:3]
	v_add_f64 v[2:3], v[61:62], v[66:67]
	v_add_f64 v[4:5], v[52:53], v[61:62]
	v_fma_f64 v[0:1], v[0:1], -0.5, v[50:51]
	v_add_f64 v[50:51], v[7:8], v[63:64]
	s_waitcnt lgkmcnt(3)
	v_add_f64 v[7:8], v[216:217], v[68:69]
	v_fma_f64 v[2:3], v[2:3], -0.5, v[52:53]
	v_add_f64 v[52:53], v[4:5], v[66:67]
	v_add_f64 v[4:5], v[54:55], -v[63:64]
	v_add_f64 v[66:67], v[125:126], -v[129:130]
	;; [unrolled: 1-line block ×3, first 2 shown]
	v_fma_f64 v[208:209], v[9:10], s[8:9], v[0:1]
	v_fma_f64 v[212:213], v[9:10], s[2:3], v[0:1]
	v_add_f64 v[0:1], v[68:69], v[72:73]
	v_add_f64 v[9:10], v[70:71], -v[74:75]
	v_fma_f64 v[210:211], v[4:5], s[2:3], v[2:3]
	v_fma_f64 v[214:215], v[4:5], s[8:9], v[2:3]
	v_add_f64 v[2:3], v[70:71], v[74:75]
	v_add_f64 v[4:5], v[218:219], v[70:71]
	v_fma_f64 v[0:1], v[0:1], -0.5, v[216:217]
	v_add_f64 v[216:217], v[7:8], v[72:73]
	s_waitcnt lgkmcnt(2)
	v_add_f64 v[7:8], v[220:221], v[76:77]
	v_fma_f64 v[2:3], v[2:3], -0.5, v[218:219]
	v_add_f64 v[218:219], v[4:5], v[74:75]
	v_add_f64 v[4:5], v[68:69], -v[72:73]
	v_fma_f64 v[224:225], v[9:10], s[8:9], v[0:1]
	v_fma_f64 v[228:229], v[9:10], s[2:3], v[0:1]
	v_add_f64 v[0:1], v[76:77], v[80:81]
	v_add_f64 v[9:10], v[78:79], -v[84:85]
	v_fma_f64 v[226:227], v[4:5], s[2:3], v[2:3]
	v_fma_f64 v[230:231], v[4:5], s[8:9], v[2:3]
	v_add_f64 v[2:3], v[78:79], v[84:85]
	v_add_f64 v[4:5], v[222:223], v[78:79]
	v_fma_f64 v[0:1], v[0:1], -0.5, v[220:221]
	v_add_f64 v[220:221], v[7:8], v[80:81]
	s_waitcnt lgkmcnt(1)
	v_add_f64 v[7:8], v[240:241], v[86:87]
	v_fma_f64 v[2:3], v[2:3], -0.5, v[222:223]
	v_add_f64 v[222:223], v[4:5], v[84:85]
	v_add_f64 v[4:5], v[76:77], -v[80:81]
	;; [unrolled: 15-line block ×3, first 2 shown]
	v_fma_f64 v[248:249], v[9:10], s[8:9], v[0:1]
	v_fma_f64 v[252:253], v[9:10], s[2:3], v[0:1]
	v_add_f64 v[0:1], v[94:95], v[98:99]
	v_add_f64 v[9:10], v[96:97], -v[100:101]
	v_fma_f64 v[250:251], v[4:5], s[2:3], v[2:3]
	v_fma_f64 v[254:255], v[4:5], s[8:9], v[2:3]
	v_add_f64 v[2:3], v[96:97], v[100:101]
	v_add_f64 v[4:5], v[246:247], v[96:97]
	v_fma_f64 v[0:1], v[0:1], -0.5, v[244:245]
	v_add_f64 v[244:245], v[7:8], v[98:99]
	s_delay_alu instid0(VALU_DEP_4) | instskip(NEXT) | instid1(VALU_DEP_4)
	v_fma_f64 v[2:3], v[2:3], -0.5, v[246:247]
	v_add_f64 v[246:247], v[4:5], v[100:101]
	v_add_f64 v[4:5], v[94:95], -v[98:99]
	v_fma_f64 v[7:8], v[9:10], s[8:9], v[0:1]
	v_fma_f64 v[38:39], v[9:10], s[2:3], v[0:1]
	s_delay_alu instid0(VALU_DEP_3)
	v_fma_f64 v[9:10], v[4:5], s[2:3], v[2:3]
	v_fma_f64 v[40:41], v[4:5], s[8:9], v[2:3]
	v_add_f64 v[4:5], v[102:103], v[109:110]
	ds_load_b128 v[0:3], v152 offset:10368
	ds_load_b128 v[61:64], v152 offset:11664
	s_waitcnt lgkmcnt(1)
	v_fma_f64 v[32:33], v[32:33], -0.5, v[2:3]
	v_add_f64 v[2:3], v[2:3], v[107:108]
	v_fma_f64 v[4:5], v[4:5], -0.5, v[0:1]
	v_add_f64 v[0:1], v[0:1], v[102:103]
	s_delay_alu instid0(VALU_DEP_4) | instskip(NEXT) | instid1(VALU_DEP_4)
	v_fma_f64 v[121:122], v[54:55], s[2:3], v[32:33]
	v_add_f64 v[2:3], v[2:3], v[114:115]
	v_fma_f64 v[116:117], v[54:55], s[8:9], v[32:33]
	v_add_f64 v[32:33], v[125:126], v[129:130]
	s_waitcnt lgkmcnt(0)
	v_add_f64 v[54:55], v[61:62], v[123:124]
	v_fma_f64 v[119:120], v[34:35], s[8:9], v[4:5]
	v_fma_f64 v[114:115], v[34:35], s[2:3], v[4:5]
	v_add_f64 v[4:5], v[123:124], v[127:128]
	v_add_f64 v[0:1], v[0:1], v[109:110]
	;; [unrolled: 1-line block ×3, first 2 shown]
	v_fma_f64 v[32:33], v[32:33], -0.5, v[63:64]
	s_delay_alu instid0(VALU_DEP_4) | instskip(SKIP_1) | instid1(VALU_DEP_4)
	v_fma_f64 v[4:5], v[4:5], -0.5, v[61:62]
	v_add_f64 v[61:62], v[54:55], v[127:128]
	v_add_f64 v[63:64], v[34:35], v[129:130]
	v_add_f64 v[34:35], v[123:124], -v[127:128]
	s_delay_alu instid0(VALU_DEP_4) | instskip(SKIP_2) | instid1(VALU_DEP_4)
	v_fma_f64 v[71:72], v[66:67], s[8:9], v[4:5]
	v_fma_f64 v[108:109], v[66:67], s[2:3], v[4:5]
	v_and_b32_e32 v4, 0xffff, v36
	v_fma_f64 v[73:74], v[34:35], s[2:3], v[32:33]
	v_fma_f64 v[110:111], v[34:35], s[8:9], v[32:33]
	s_delay_alu instid0(VALU_DEP_3) | instskip(NEXT) | instid1(VALU_DEP_1)
	v_mul_u32_u24_e32 v4, 0x5a, v4
	v_add_lshl_u32 v4, v4, v82, 4
	scratch_store_b32 off, v4, off offset:1436 ; 4-byte Folded Spill
	s_waitcnt_vscnt null, 0x0
	s_barrier
	buffer_gl0_inv
	ds_store_b128 v4, v[42:45]
	ds_store_b128 v4, v[16:19] offset:480
	ds_store_b128 v4, v[20:23] offset:960
	v_and_b32_e32 v4, 0xffff, v131
	s_delay_alu instid0(VALU_DEP_1) | instskip(NEXT) | instid1(VALU_DEP_1)
	v_mul_u32_u24_e32 v4, 0x5a, v4
	v_add_lshl_u32 v4, v4, v132, 4
	scratch_store_b32 off, v4, off offset:1432 ; 4-byte Folded Spill
	ds_store_b128 v4, v[12:15]
	ds_store_b128 v4, v[24:27] offset:480
	ds_store_b128 v4, v[28:31] offset:960
	v_and_b32_e32 v4, 0xffff, v133
	s_delay_alu instid0(VALU_DEP_1) | instskip(NEXT) | instid1(VALU_DEP_1)
	v_mul_u32_u24_e32 v4, 0x5a, v4
	v_add_lshl_u32 v4, v4, v134, 4
	scratch_store_b32 off, v4, off offset:1428 ; 4-byte Folded Spill
	ds_store_b128 v4, v[46:49]
	ds_store_b128 v4, v[57:60] offset:480
	ds_store_b128 v4, v[204:207] offset:960
	v_mad_u16 v4, 0x5a, v135, v136
	s_delay_alu instid0(VALU_DEP_1) | instskip(NEXT) | instid1(VALU_DEP_1)
	v_and_b32_e32 v4, 0xffff, v4
	v_lshlrev_b32_e32 v4, 4, v4
	scratch_store_b32 off, v4, off offset:1424 ; 4-byte Folded Spill
	ds_store_b128 v4, v[50:53]
	ds_store_b128 v4, v[208:211] offset:480
	ds_store_b128 v4, v[212:215] offset:960
	v_mad_u16 v4, 0x5a, v137, v138
	s_delay_alu instid0(VALU_DEP_1) | instskip(NEXT) | instid1(VALU_DEP_1)
	v_and_b32_e32 v4, 0xffff, v4
	v_lshlrev_b32_e32 v4, 4, v4
	;; [unrolled: 8-line block ×7, first 2 shown]
	scratch_store_b32 off, v0, off offset:1396 ; 4-byte Folded Spill
	ds_store_b128 v0, v[61:64]
	ds_store_b128 v0, v[71:74] offset:480
	ds_store_b128 v0, v[108:111] offset:960
	s_waitcnt lgkmcnt(0)
	s_waitcnt_vscnt null, 0x0
	s_barrier
	buffer_gl0_inv
	s_clause 0x1
	global_load_b128 v[11:14], v156, s[10:11] offset:1280
	global_load_b128 v[19:22], v156, s[10:11] offset:1296
	s_waitcnt vmcnt(1)
	scratch_store_b128 off, v[11:14], off offset:1312 ; 16-byte Folded Spill
	s_waitcnt vmcnt(0)
	scratch_store_b128 off, v[19:22], off offset:1280 ; 16-byte Folded Spill
	ds_load_b128 v[0:3], v152 offset:12960
	ds_load_b128 v[7:10], v152 offset:14256
	s_waitcnt lgkmcnt(1)
	v_mul_f64 v[4:5], v[2:3], v[13:14]
	s_delay_alu instid0(VALU_DEP_1) | instskip(SKIP_1) | instid1(VALU_DEP_1)
	v_fma_f64 v[4:5], v[0:1], v[11:12], -v[4:5]
	v_mul_f64 v[0:1], v[0:1], v[13:14]
	v_fma_f64 v[15:16], v[2:3], v[11:12], v[0:1]
	ds_load_b128 v[0:3], v152 offset:25920
	ds_load_b128 v[11:14], v152 offset:27216
	s_waitcnt lgkmcnt(1)
	v_mul_f64 v[17:18], v[2:3], v[21:22]
	s_delay_alu instid0(VALU_DEP_1) | instskip(SKIP_1) | instid1(VALU_DEP_1)
	v_fma_f64 v[17:18], v[0:1], v[19:20], -v[17:18]
	v_mul_f64 v[0:1], v[0:1], v[21:22]
	v_fma_f64 v[19:20], v[2:3], v[19:20], v[0:1]
	scratch_load_b32 v2, off, off offset:512 ; 4-byte Folded Reload
	v_add_co_u32 v0, s28, v185, -9
	s_delay_alu instid0(VALU_DEP_1) | instskip(NEXT) | instid1(VALU_DEP_2)
	v_add_co_ci_u32_e64 v1, null, 0, -1, s28
	v_dual_mov_b32 v185, v175 :: v_dual_cndmask_b32 v32, v0, v149
	s_waitcnt vmcnt(0)
	s_delay_alu instid0(VALU_DEP_2) | instskip(NEXT) | instid1(VALU_DEP_1)
	v_cndmask_b32_e32 v33, v1, v2, vcc_lo
	v_lshlrev_b64 v[0:1], 5, v[32:33]
	s_delay_alu instid0(VALU_DEP_1) | instskip(NEXT) | instid1(VALU_DEP_2)
	v_add_co_u32 v0, vcc_lo, s10, v0
	v_add_co_ci_u32_e32 v1, vcc_lo, s11, v1, vcc_lo
	s_clause 0x1
	global_load_b128 v[252:255], v[0:1], off offset:1280
	global_load_b128 v[25:28], v[0:1], off offset:1296
	v_cmp_lt_u16_e32 vcc_lo, 8, v113
	s_waitcnt vmcnt(1)
	v_mul_f64 v[0:1], v[9:10], v[254:255]
	s_delay_alu instid0(VALU_DEP_1) | instskip(SKIP_1) | instid1(VALU_DEP_1)
	v_fma_f64 v[21:22], v[7:8], v[252:253], -v[0:1]
	v_mul_f64 v[0:1], v[7:8], v[254:255]
	v_fma_f64 v[23:24], v[9:10], v[252:253], v[0:1]
	s_waitcnt vmcnt(0)
	v_mov_b32_e32 v7, v25
	v_dual_mov_b32 v9, v27 :: v_dual_mov_b32 v10, v28
	v_mov_b32_e32 v8, v26
	s_waitcnt lgkmcnt(0)
	s_delay_alu instid0(VALU_DEP_2) | instskip(SKIP_3) | instid1(VALU_DEP_1)
	v_mul_f64 v[0:1], v[13:14], v[9:10]
	scratch_store_b128 off, v[7:10], off offset:1360 ; 16-byte Folded Spill
	v_fma_f64 v[25:26], v[11:12], v[7:8], -v[0:1]
	v_mul_f64 v[0:1], v[11:12], v[9:10]
	v_fma_f64 v[27:28], v[13:14], v[7:8], v[0:1]
	v_mul_lo_u16 v0, 0xb7, v150
	s_delay_alu instid0(VALU_DEP_1) | instskip(NEXT) | instid1(VALU_DEP_1)
	v_lshrrev_b16 v157, 14, v0
	v_mul_lo_u16 v0, 0x5a, v157
	s_delay_alu instid0(VALU_DEP_1) | instskip(NEXT) | instid1(VALU_DEP_1)
	v_sub_nc_u16 v0, v56, v0
	v_and_b32_e32 v158, 0xff, v0
	s_delay_alu instid0(VALU_DEP_1)
	v_lshlrev_b32_e32 v0, 5, v158
	s_clause 0x1
	global_load_b128 v[33:36], v0, s[10:11] offset:1280
	global_load_b128 v[38:41], v0, s[10:11] offset:1296
	s_waitcnt vmcnt(1)
	scratch_store_b128 off, v[33:36], off offset:1328 ; 16-byte Folded Spill
	s_waitcnt vmcnt(0)
	scratch_store_b128 off, v[38:41], off offset:1296 ; 16-byte Folded Spill
	ds_load_b128 v[0:3], v152 offset:15552
	ds_load_b128 v[7:10], v152 offset:16848
	s_waitcnt lgkmcnt(1)
	v_mul_f64 v[11:12], v[2:3], v[35:36]
	s_delay_alu instid0(VALU_DEP_1) | instskip(SKIP_1) | instid1(VALU_DEP_1)
	v_fma_f64 v[42:43], v[0:1], v[33:34], -v[11:12]
	v_mul_f64 v[0:1], v[0:1], v[35:36]
	v_fma_f64 v[30:31], v[2:3], v[33:34], v[0:1]
	ds_load_b128 v[0:3], v152 offset:28512
	ds_load_b128 v[11:14], v152 offset:29808
	s_waitcnt lgkmcnt(1)
	v_mul_f64 v[33:34], v[2:3], v[40:41]
	s_delay_alu instid0(VALU_DEP_1) | instskip(SKIP_1) | instid1(VALU_DEP_1)
	v_fma_f64 v[44:45], v[0:1], v[38:39], -v[33:34]
	v_mul_f64 v[0:1], v[0:1], v[40:41]
	v_fma_f64 v[46:47], v[2:3], v[38:39], v[0:1]
	v_mul_u32_u24_e32 v0, 0x2d83, v112
	s_delay_alu instid0(VALU_DEP_1) | instskip(NEXT) | instid1(VALU_DEP_1)
	v_lshrrev_b32_e32 v159, 20, v0
	v_mul_lo_u16 v0, 0x5a, v159
	s_delay_alu instid0(VALU_DEP_1) | instskip(NEXT) | instid1(VALU_DEP_1)
	v_sub_nc_u16 v160, v153, v0
	v_lshlrev_b16 v0, 5, v160
	s_delay_alu instid0(VALU_DEP_1) | instskip(NEXT) | instid1(VALU_DEP_1)
	v_and_b32_e32 v0, 0xffff, v0
	v_add_co_u32 v0, s28, s10, v0
	s_delay_alu instid0(VALU_DEP_1)
	v_add_co_ci_u32_e64 v1, null, s11, 0, s28
	s_clause 0x1
	global_load_b128 v[236:239], v[0:1], off offset:1280
	global_load_b128 v[244:247], v[0:1], off offset:1296
	s_waitcnt vmcnt(1)
	v_mul_f64 v[0:1], v[9:10], v[238:239]
	s_delay_alu instid0(VALU_DEP_1) | instskip(SKIP_1) | instid1(VALU_DEP_1)
	v_fma_f64 v[50:51], v[7:8], v[236:237], -v[0:1]
	v_mul_f64 v[0:1], v[7:8], v[238:239]
	v_fma_f64 v[52:53], v[9:10], v[236:237], v[0:1]
	s_waitcnt vmcnt(0) lgkmcnt(0)
	v_mul_f64 v[0:1], v[13:14], v[246:247]
	s_delay_alu instid0(VALU_DEP_1) | instskip(SKIP_1) | instid1(VALU_DEP_1)
	v_fma_f64 v[54:55], v[11:12], v[244:245], -v[0:1]
	v_mul_f64 v[0:1], v[11:12], v[246:247]
	v_fma_f64 v[57:58], v[13:14], v[244:245], v[0:1]
	v_mul_u32_u24_e32 v0, 0x2d83, v118
	s_delay_alu instid0(VALU_DEP_1) | instskip(NEXT) | instid1(VALU_DEP_1)
	v_lshrrev_b32_e32 v161, 20, v0
	v_mul_lo_u16 v0, 0x5a, v161
	s_delay_alu instid0(VALU_DEP_1) | instskip(SKIP_1) | instid1(VALU_DEP_2)
	v_sub_nc_u16 v162, v175, v0
	v_mov_b32_e32 v175, v171
	v_lshlrev_b16 v0, 5, v162
	s_delay_alu instid0(VALU_DEP_1) | instskip(NEXT) | instid1(VALU_DEP_1)
	v_and_b32_e32 v0, 0xffff, v0
	v_add_co_u32 v0, s28, s10, v0
	s_delay_alu instid0(VALU_DEP_1)
	v_add_co_ci_u32_e64 v1, null, s11, 0, s28
	s_clause 0x1
	global_load_b128 v[248:251], v[0:1], off offset:1280
	global_load_b128 v[38:41], v[0:1], off offset:1296
	s_waitcnt vmcnt(0)
	scratch_store_b128 off, v[38:41], off offset:1344 ; 16-byte Folded Spill
	ds_load_b128 v[0:3], v152 offset:18144
	ds_load_b128 v[7:10], v152 offset:19440
	s_waitcnt lgkmcnt(1)
	v_mul_f64 v[11:12], v[2:3], v[250:251]
	s_delay_alu instid0(VALU_DEP_1) | instskip(SKIP_1) | instid1(VALU_DEP_1)
	v_fma_f64 v[66:67], v[0:1], v[248:249], -v[11:12]
	v_mul_f64 v[0:1], v[0:1], v[250:251]
	v_fma_f64 v[68:69], v[2:3], v[248:249], v[0:1]
	ds_load_b128 v[0:3], v152 offset:31104
	ds_load_b128 v[11:14], v152 offset:32400
	s_waitcnt lgkmcnt(1)
	v_mul_f64 v[33:34], v[2:3], v[40:41]
	s_delay_alu instid0(VALU_DEP_1) | instskip(SKIP_1) | instid1(VALU_DEP_1)
	v_fma_f64 v[75:76], v[0:1], v[38:39], -v[33:34]
	v_mul_f64 v[0:1], v[0:1], v[40:41]
	v_fma_f64 v[77:78], v[2:3], v[38:39], v[0:1]
	v_mul_u32_u24_e32 v0, 0x2d83, v6
	s_delay_alu instid0(VALU_DEP_1) | instskip(NEXT) | instid1(VALU_DEP_1)
	v_lshrrev_b32_e32 v163, 20, v0
	v_mul_lo_u16 v0, 0x5a, v163
	s_delay_alu instid0(VALU_DEP_1) | instskip(NEXT) | instid1(VALU_DEP_1)
	v_sub_nc_u16 v164, v190, v0
	v_lshlrev_b16 v0, 5, v164
	s_delay_alu instid0(VALU_DEP_1) | instskip(NEXT) | instid1(VALU_DEP_1)
	v_and_b32_e32 v0, 0xffff, v0
	v_add_co_u32 v0, s28, s10, v0
	s_delay_alu instid0(VALU_DEP_1)
	v_add_co_ci_u32_e64 v1, null, s11, 0, s28
	s_clause 0x1
	global_load_b128 v[224:227], v[0:1], off offset:1280
	global_load_b128 v[232:235], v[0:1], off offset:1296
	s_waitcnt vmcnt(1)
	v_mul_f64 v[0:1], v[9:10], v[226:227]
	s_delay_alu instid0(VALU_DEP_1) | instskip(SKIP_1) | instid1(VALU_DEP_1)
	v_fma_f64 v[84:85], v[7:8], v[224:225], -v[0:1]
	v_mul_f64 v[0:1], v[7:8], v[226:227]
	v_fma_f64 v[86:87], v[9:10], v[224:225], v[0:1]
	s_waitcnt vmcnt(0) lgkmcnt(0)
	v_mul_f64 v[0:1], v[13:14], v[234:235]
	s_delay_alu instid0(VALU_DEP_1) | instskip(SKIP_1) | instid1(VALU_DEP_1)
	v_fma_f64 v[88:89], v[11:12], v[232:233], -v[0:1]
	v_mul_f64 v[0:1], v[11:12], v[234:235]
	v_fma_f64 v[90:91], v[13:14], v[232:233], v[0:1]
	v_mul_u32_u24_e32 v0, 0x2d83, v151
	s_delay_alu instid0(VALU_DEP_1) | instskip(NEXT) | instid1(VALU_DEP_1)
	v_lshrrev_b32_e32 v165, 20, v0
	v_mul_lo_u16 v0, 0x5a, v165
	s_delay_alu instid0(VALU_DEP_1) | instskip(NEXT) | instid1(VALU_DEP_1)
	v_sub_nc_u16 v166, v176, v0
	v_lshlrev_b16 v0, 5, v166
	s_delay_alu instid0(VALU_DEP_1) | instskip(NEXT) | instid1(VALU_DEP_1)
	v_and_b32_e32 v0, 0xffff, v0
	v_add_co_u32 v0, s28, s10, v0
	s_delay_alu instid0(VALU_DEP_1)
	v_add_co_ci_u32_e64 v1, null, s11, 0, s28
	s_clause 0x1
	global_load_b128 v[228:231], v[0:1], off offset:1280
	global_load_b128 v[38:41], v[0:1], off offset:1296
	s_waitcnt vmcnt(0)
	scratch_store_b128 off, v[38:41], off offset:1376 ; 16-byte Folded Spill
	ds_load_b128 v[0:3], v152 offset:20736
	ds_load_b128 v[6:9], v152 offset:22032
	s_waitcnt lgkmcnt(1)
	v_mul_f64 v[10:11], v[2:3], v[230:231]
	s_delay_alu instid0(VALU_DEP_1) | instskip(SKIP_1) | instid1(VALU_DEP_1)
	v_fma_f64 v[92:93], v[0:1], v[228:229], -v[10:11]
	v_mul_f64 v[0:1], v[0:1], v[230:231]
	v_fma_f64 v[94:95], v[2:3], v[228:229], v[0:1]
	ds_load_b128 v[0:3], v152 offset:33696
	ds_load_b128 v[10:13], v152 offset:34992
	s_waitcnt lgkmcnt(1)
	v_mul_f64 v[33:34], v[2:3], v[40:41]
	s_delay_alu instid0(VALU_DEP_1) | instskip(SKIP_1) | instid1(VALU_DEP_1)
	v_fma_f64 v[96:97], v[0:1], v[38:39], -v[33:34]
	v_mul_f64 v[0:1], v[0:1], v[40:41]
	v_fma_f64 v[98:99], v[2:3], v[38:39], v[0:1]
	v_mul_u32_u24_e32 v0, 0x2d83, v106
	s_delay_alu instid0(VALU_DEP_1) | instskip(NEXT) | instid1(VALU_DEP_1)
	v_lshrrev_b32_e32 v167, 20, v0
	v_mul_lo_u16 v0, 0x5a, v167
	s_delay_alu instid0(VALU_DEP_1) | instskip(NEXT) | instid1(VALU_DEP_1)
	v_sub_nc_u16 v168, v37, v0
	v_lshlrev_b16 v0, 5, v168
	s_delay_alu instid0(VALU_DEP_1) | instskip(NEXT) | instid1(VALU_DEP_1)
	v_and_b32_e32 v0, 0xffff, v0
	v_add_co_u32 v0, s28, s10, v0
	s_delay_alu instid0(VALU_DEP_1)
	v_add_co_ci_u32_e64 v1, null, s11, 0, s28
	s_clause 0x1
	global_load_b128 v[212:215], v[0:1], off offset:1280
	global_load_b128 v[216:219], v[0:1], off offset:1296
	s_waitcnt vmcnt(1)
	v_mul_f64 v[0:1], v[8:9], v[214:215]
	s_delay_alu instid0(VALU_DEP_1) | instskip(SKIP_1) | instid1(VALU_DEP_1)
	v_fma_f64 v[111:112], v[6:7], v[212:213], -v[0:1]
	v_mul_f64 v[0:1], v[6:7], v[214:215]
	v_fma_f64 v[134:135], v[8:9], v[212:213], v[0:1]
	s_waitcnt vmcnt(0) lgkmcnt(0)
	v_mul_f64 v[0:1], v[12:13], v[218:219]
	s_delay_alu instid0(VALU_DEP_1) | instskip(SKIP_1) | instid1(VALU_DEP_1)
	v_fma_f64 v[136:137], v[10:11], v[216:217], -v[0:1]
	v_mul_f64 v[0:1], v[10:11], v[218:219]
	v_fma_f64 v[138:139], v[12:13], v[216:217], v[0:1]
	v_mul_u32_u24_e32 v0, 0x2d83, v105
	s_delay_alu instid0(VALU_DEP_1) | instskip(NEXT) | instid1(VALU_DEP_1)
	v_lshrrev_b32_e32 v169, 20, v0
	v_mul_lo_u16 v0, 0x5a, v169
	s_delay_alu instid0(VALU_DEP_1) | instskip(NEXT) | instid1(VALU_DEP_1)
	v_sub_nc_u16 v170, v83, v0
	v_lshlrev_b16 v0, 5, v170
	s_delay_alu instid0(VALU_DEP_1) | instskip(NEXT) | instid1(VALU_DEP_1)
	v_and_b32_e32 v0, 0xffff, v0
	v_add_co_u32 v0, s28, s10, v0
	s_delay_alu instid0(VALU_DEP_1)
	v_add_co_ci_u32_e64 v1, null, s11, 0, s28
	s_clause 0x1
	global_load_b128 v[220:223], v[0:1], off offset:1280
	global_load_b128 v[240:243], v[0:1], off offset:1296
	ds_load_b128 v[0:3], v152 offset:23328
	ds_load_b128 v[6:9], v152 offset:24624
	s_waitcnt vmcnt(1) lgkmcnt(1)
	v_mul_f64 v[10:11], v[2:3], v[222:223]
	s_delay_alu instid0(VALU_DEP_1) | instskip(SKIP_1) | instid1(VALU_DEP_1)
	v_fma_f64 v[140:141], v[0:1], v[220:221], -v[10:11]
	v_mul_f64 v[0:1], v[0:1], v[222:223]
	v_fma_f64 v[142:143], v[2:3], v[220:221], v[0:1]
	ds_load_b128 v[0:3], v152 offset:36288
	ds_load_b128 v[10:13], v152 offset:37584
	s_waitcnt vmcnt(0) lgkmcnt(1)
	v_mul_f64 v[33:34], v[2:3], v[242:243]
	s_delay_alu instid0(VALU_DEP_1) | instskip(SKIP_1) | instid1(VALU_DEP_1)
	v_fma_f64 v[144:145], v[0:1], v[240:241], -v[33:34]
	v_mul_f64 v[0:1], v[0:1], v[242:243]
	v_fma_f64 v[146:147], v[2:3], v[240:241], v[0:1]
	v_mul_u32_u24_e32 v0, 0x2d83, v171
	s_delay_alu instid0(VALU_DEP_1) | instskip(NEXT) | instid1(VALU_DEP_1)
	v_lshrrev_b32_e32 v0, 20, v0
	v_mul_lo_u16 v0, 0x5a, v0
	s_delay_alu instid0(VALU_DEP_1) | instskip(NEXT) | instid1(VALU_DEP_1)
	v_sub_nc_u16 v171, v65, v0
	v_lshlrev_b16 v0, 5, v171
	s_delay_alu instid0(VALU_DEP_1) | instskip(NEXT) | instid1(VALU_DEP_1)
	v_and_b32_e32 v0, 0xffff, v0
	v_add_co_u32 v0, s28, s10, v0
	s_delay_alu instid0(VALU_DEP_1)
	v_add_co_ci_u32_e64 v1, null, s11, 0, s28
	s_clause 0x1
	global_load_b128 v[204:207], v[0:1], off offset:1280
	global_load_b128 v[208:211], v[0:1], off offset:1296
	s_waitcnt vmcnt(1)
	v_mul_f64 v[0:1], v[8:9], v[206:207]
	s_delay_alu instid0(VALU_DEP_1) | instskip(SKIP_1) | instid1(VALU_DEP_1)
	v_fma_f64 v[148:149], v[6:7], v[204:205], -v[0:1]
	v_mul_f64 v[0:1], v[6:7], v[206:207]
	v_fma_f64 v[150:151], v[8:9], v[204:205], v[0:1]
	s_waitcnt vmcnt(0) lgkmcnt(0)
	v_mul_f64 v[0:1], v[12:13], v[210:211]
	s_delay_alu instid0(VALU_DEP_1) | instskip(SKIP_2) | instid1(VALU_DEP_2)
	v_fma_f64 v[172:173], v[10:11], v[208:209], -v[0:1]
	v_mul_f64 v[0:1], v[10:11], v[210:211]
	v_add_f64 v[10:11], v[4:5], v[17:18]
	v_fma_f64 v[154:155], v[12:13], v[208:209], v[0:1]
	ds_load_b128 v[0:3], v152
	ds_load_b128 v[6:9], v152 offset:1296
	v_add_f64 v[12:13], v[15:16], v[19:20]
	s_waitcnt lgkmcnt(1)
	v_fma_f64 v[10:11], v[10:11], -0.5, v[0:1]
	v_add_f64 v[0:1], v[0:1], v[4:5]
	s_delay_alu instid0(VALU_DEP_3) | instskip(SKIP_2) | instid1(VALU_DEP_4)
	v_fma_f64 v[12:13], v[12:13], -0.5, v[2:3]
	v_add_f64 v[2:3], v[2:3], v[15:16]
	v_add_f64 v[14:15], v[15:16], -v[19:20]
	v_add_f64 v[130:131], v[0:1], v[17:18]
	v_add_f64 v[0:1], v[4:5], -v[17:18]
	s_waitcnt lgkmcnt(0)
	v_add_f64 v[4:5], v[8:9], v[23:24]
	v_add_f64 v[132:133], v[2:3], v[19:20]
	;; [unrolled: 1-line block ×3, first 2 shown]
	v_fma_f64 v[126:127], v[14:15], s[8:9], v[10:11]
	v_fma_f64 v[122:123], v[14:15], s[2:3], v[10:11]
	v_add_f64 v[10:11], v[142:143], -v[146:147]
	v_fma_f64 v[128:129], v[0:1], s[2:3], v[12:13]
	v_fma_f64 v[124:125], v[0:1], s[8:9], v[12:13]
	v_add_f64 v[0:1], v[21:22], v[25:26]
	v_add_f64 v[102:103], v[4:5], v[27:28]
	v_add_f64 v[4:5], v[21:22], -v[25:26]
	v_fma_f64 v[2:3], v[2:3], -0.5, v[8:9]
	v_add_f64 v[8:9], v[23:24], -v[27:28]
	v_fma_f64 v[0:1], v[0:1], -0.5, v[6:7]
	v_add_f64 v[6:7], v[6:7], v[21:22]
	s_delay_alu instid0(VALU_DEP_4)
	v_fma_f64 v[35:36], v[4:5], s[2:3], v[2:3]
	v_fma_f64 v[81:82], v[4:5], s[8:9], v[2:3]
	v_add_f64 v[2:3], v[30:31], v[46:47]
	v_fma_f64 v[33:34], v[8:9], s[8:9], v[0:1]
	v_add_f64 v[100:101], v[6:7], v[25:26]
	ds_load_b128 v[26:29], v152 offset:2592
	ds_load_b128 v[38:41], v152 offset:3888
	v_fma_f64 v[79:80], v[8:9], s[2:3], v[0:1]
	v_add_f64 v[0:1], v[42:43], v[44:45]
	v_add_f64 v[8:9], v[30:31], -v[46:47]
	ds_load_b128 v[61:64], v152 offset:5184
	ds_load_b128 v[71:74], v152 offset:6480
	s_waitcnt lgkmcnt(3)
	v_add_f64 v[4:5], v[28:29], v[30:31]
	v_fma_f64 v[2:3], v[2:3], -0.5, v[28:29]
	v_add_f64 v[6:7], v[26:27], v[42:43]
	v_fma_f64 v[0:1], v[0:1], -0.5, v[26:27]
	s_delay_alu instid0(VALU_DEP_4) | instskip(SKIP_1) | instid1(VALU_DEP_4)
	v_add_f64 v[30:31], v[4:5], v[46:47]
	v_add_f64 v[4:5], v[42:43], -v[44:45]
	v_add_f64 v[28:29], v[6:7], v[44:45]
	s_waitcnt lgkmcnt(2)
	v_add_f64 v[6:7], v[38:39], v[50:51]
	v_fma_f64 v[42:43], v[8:9], s[8:9], v[0:1]
	v_fma_f64 v[46:47], v[8:9], s[2:3], v[0:1]
	v_add_f64 v[0:1], v[50:51], v[54:55]
	v_add_f64 v[8:9], v[52:53], -v[57:58]
	v_fma_f64 v[44:45], v[4:5], s[2:3], v[2:3]
	v_fma_f64 v[48:49], v[4:5], s[8:9], v[2:3]
	v_add_f64 v[2:3], v[52:53], v[57:58]
	v_add_f64 v[4:5], v[40:41], v[52:53]
	v_fma_f64 v[0:1], v[0:1], -0.5, v[38:39]
	v_add_f64 v[38:39], v[6:7], v[54:55]
	s_waitcnt lgkmcnt(1)
	v_add_f64 v[6:7], v[61:62], v[66:67]
	v_fma_f64 v[2:3], v[2:3], -0.5, v[40:41]
	v_add_f64 v[40:41], v[4:5], v[57:58]
	v_add_f64 v[4:5], v[50:51], -v[54:55]
	v_add_f64 v[54:55], v[150:151], -v[154:155]
	v_fma_f64 v[50:51], v[8:9], s[8:9], v[0:1]
	v_fma_f64 v[57:58], v[8:9], s[2:3], v[0:1]
	v_add_f64 v[0:1], v[66:67], v[75:76]
	v_add_f64 v[8:9], v[68:69], -v[77:78]
	v_fma_f64 v[52:53], v[4:5], s[2:3], v[2:3]
	v_fma_f64 v[59:60], v[4:5], s[8:9], v[2:3]
	v_add_f64 v[2:3], v[68:69], v[77:78]
	v_add_f64 v[4:5], v[63:64], v[68:69]
	v_fma_f64 v[0:1], v[0:1], -0.5, v[61:62]
	v_add_f64 v[61:62], v[6:7], v[75:76]
	s_waitcnt lgkmcnt(0)
	v_add_f64 v[6:7], v[71:72], v[84:85]
	v_fma_f64 v[2:3], v[2:3], -0.5, v[63:64]
	v_add_f64 v[63:64], v[4:5], v[77:78]
	v_add_f64 v[4:5], v[66:67], -v[75:76]
	v_fma_f64 v[107:108], v[8:9], s[8:9], v[0:1]
	v_fma_f64 v[114:115], v[8:9], s[2:3], v[0:1]
	v_add_f64 v[0:1], v[84:85], v[88:89]
	v_add_f64 v[8:9], v[86:87], -v[90:91]
	v_fma_f64 v[109:110], v[4:5], s[2:3], v[2:3]
	v_fma_f64 v[116:117], v[4:5], s[8:9], v[2:3]
	v_add_f64 v[2:3], v[86:87], v[90:91]
	v_add_f64 v[4:5], v[73:74], v[86:87]
	v_fma_f64 v[0:1], v[0:1], -0.5, v[71:72]
	v_add_f64 v[71:72], v[6:7], v[88:89]
	v_add_f64 v[6:7], v[94:95], v[98:99]
	v_fma_f64 v[2:3], v[2:3], -0.5, v[73:74]
	v_add_f64 v[73:74], v[4:5], v[90:91]
	v_add_f64 v[4:5], v[84:85], -v[88:89]
	v_fma_f64 v[118:119], v[8:9], s[8:9], v[0:1]
	v_fma_f64 v[24:25], v[8:9], s[2:3], v[0:1]
	v_add_f64 v[8:9], v[94:95], -v[98:99]
	s_delay_alu instid0(VALU_DEP_4)
	v_fma_f64 v[120:121], v[4:5], s[2:3], v[2:3]
	v_fma_f64 v[26:27], v[4:5], s[8:9], v[2:3]
	v_add_f64 v[4:5], v[92:93], v[96:97]
	ds_load_b128 v[0:3], v152 offset:7776
	ds_load_b128 v[67:70], v152 offset:9072
	;; [unrolled: 1-line block ×4, first 2 shown]
	s_waitcnt lgkmcnt(0)
	s_waitcnt_vscnt null, 0x0
	s_barrier
	buffer_gl0_inv
	ds_store_b128 v152, v[130:133]
	ds_store_b128 v152, v[126:129] offset:1440
	ds_store_b128 v152, v[122:125] offset:2880
	v_fma_f64 v[6:7], v[6:7], -0.5, v[2:3]
	v_add_f64 v[2:3], v[2:3], v[94:95]
	v_fma_f64 v[4:5], v[4:5], -0.5, v[0:1]
	v_add_f64 v[0:1], v[0:1], v[92:93]
	s_delay_alu instid0(VALU_DEP_3) | instskip(SKIP_1) | instid1(VALU_DEP_4)
	v_add_f64 v[22:23], v[2:3], v[98:99]
	v_add_f64 v[2:3], v[134:135], v[138:139]
	v_fma_f64 v[75:76], v[8:9], s[8:9], v[4:5]
	s_delay_alu instid0(VALU_DEP_4)
	v_add_f64 v[20:21], v[0:1], v[96:97]
	v_add_f64 v[0:1], v[92:93], -v[96:97]
	v_fma_f64 v[96:97], v[8:9], s[2:3], v[4:5]
	v_add_f64 v[4:5], v[69:70], v[134:135]
	v_add_f64 v[8:9], v[134:135], -v[138:139]
	v_fma_f64 v[2:3], v[2:3], -0.5, v[69:70]
	v_fma_f64 v[77:78], v[0:1], s[2:3], v[6:7]
	v_fma_f64 v[98:99], v[0:1], s[8:9], v[6:7]
	v_add_f64 v[0:1], v[111:112], v[136:137]
	v_add_f64 v[69:70], v[4:5], v[138:139]
	v_add_f64 v[4:5], v[111:112], -v[136:137]
	v_add_f64 v[6:7], v[67:68], v[111:112]
	v_add_f64 v[111:112], v[148:149], -v[172:173]
	v_fma_f64 v[0:1], v[0:1], -0.5, v[67:68]
	s_delay_alu instid0(VALU_DEP_4)
	v_fma_f64 v[18:19], v[4:5], s[2:3], v[2:3]
	v_fma_f64 v[94:95], v[4:5], s[8:9], v[2:3]
	v_add_f64 v[2:3], v[142:143], v[146:147]
	v_add_f64 v[4:5], v[90:91], v[142:143]
	;; [unrolled: 1-line block ×4, first 2 shown]
	v_mov_b32_e32 v142, v113
	v_fma_f64 v[16:17], v[8:9], s[8:9], v[0:1]
	v_fma_f64 v[92:93], v[8:9], s[2:3], v[0:1]
	v_add_f64 v[0:1], v[140:141], v[144:145]
	v_fma_f64 v[2:3], v[2:3], -0.5, v[90:91]
	v_add_f64 v[90:91], v[4:5], v[146:147]
	v_add_f64 v[4:5], v[140:141], -v[144:145]
	s_delay_alu instid0(VALU_DEP_4) | instskip(SKIP_1) | instid1(VALU_DEP_3)
	v_fma_f64 v[0:1], v[0:1], -0.5, v[88:89]
	v_add_f64 v[88:89], v[6:7], v[144:145]
	v_fma_f64 v[14:15], v[4:5], s[8:9], v[2:3]
	s_delay_alu instid0(VALU_DEP_3) | instskip(SKIP_4) | instid1(VALU_DEP_3)
	v_fma_f64 v[8:9], v[10:11], s[8:9], v[0:1]
	v_fma_f64 v[12:13], v[10:11], s[2:3], v[0:1]
	v_add_f64 v[0:1], v[148:149], v[172:173]
	v_fma_f64 v[10:11], v[4:5], s[2:3], v[2:3]
	v_add_f64 v[4:5], v[84:85], v[148:149]
	v_fma_f64 v[2:3], v[0:1], -0.5, v[84:85]
	v_add_f64 v[0:1], v[150:151], v[154:155]
	s_delay_alu instid0(VALU_DEP_3) | instskip(NEXT) | instid1(VALU_DEP_3)
	v_add_f64 v[84:85], v[4:5], v[172:173]
	v_fma_f64 v[4:5], v[54:55], s[2:3], v[2:3]
	s_delay_alu instid0(VALU_DEP_3) | instskip(SKIP_1) | instid1(VALU_DEP_1)
	v_fma_f64 v[6:7], v[0:1], -0.5, v[86:87]
	v_add_f64 v[0:1], v[86:87], v[150:151]
	v_add_f64 v[86:87], v[0:1], v[154:155]
	v_fma_f64 v[0:1], v[54:55], s[8:9], v[2:3]
	v_cndmask_b32_e64 v54, 0, 0x10e, vcc_lo
	v_fma_f64 v[2:3], v[111:112], s[2:3], v[6:7]
	v_fma_f64 v[6:7], v[111:112], s[8:9], v[6:7]
	s_delay_alu instid0(VALU_DEP_3)
	v_add_lshl_u32 v32, v32, v54, 4
	scratch_store_b32 off, v32, off offset:1164 ; 4-byte Folded Spill
	ds_store_b128 v32, v[100:103]
	ds_store_b128 v32, v[33:36] offset:1440
	ds_store_b128 v32, v[79:82] offset:2880
	v_and_b32_e32 v32, 0xffff, v157
	s_delay_alu instid0(VALU_DEP_1) | instskip(NEXT) | instid1(VALU_DEP_1)
	v_mul_u32_u24_e32 v32, 0x10e, v32
	v_add_lshl_u32 v32, v32, v158, 4
	scratch_store_b32 off, v32, off offset:1144 ; 4-byte Folded Spill
	ds_store_b128 v32, v[28:31]
	ds_store_b128 v32, v[42:45] offset:1440
	ds_store_b128 v32, v[46:49] offset:2880
	v_mad_u16 v28, 0x10e, v159, v160
	s_delay_alu instid0(VALU_DEP_1) | instskip(NEXT) | instid1(VALU_DEP_1)
	v_and_b32_e32 v28, 0xffff, v28
	v_lshlrev_b32_e32 v28, 4, v28
	scratch_store_b32 off, v28, off offset:1012 ; 4-byte Folded Spill
	ds_store_b128 v28, v[38:41]
	ds_store_b128 v28, v[50:53] offset:1440
	ds_store_b128 v28, v[57:60] offset:2880
	v_mad_u16 v28, 0x10e, v161, v162
	s_delay_alu instid0(VALU_DEP_1) | instskip(NEXT) | instid1(VALU_DEP_1)
	v_and_b32_e32 v28, 0xffff, v28
	v_lshlrev_b32_e32 v28, 4, v28
	;; [unrolled: 8-line block ×6, first 2 shown]
	scratch_store_b32 off, v16, off offset:936 ; 4-byte Folded Spill
	ds_store_b128 v16, v[88:91]
	ds_store_b128 v16, v[8:11] offset:1440
	ds_store_b128 v16, v[12:15] offset:2880
	v_and_b32_e32 v8, 0xffff, v171
	v_add_co_u32 v10, s28, s10, v156
	s_delay_alu instid0(VALU_DEP_1) | instskip(NEXT) | instid1(VALU_DEP_3)
	v_add_co_ci_u32_e64 v11, null, s11, 0, s28
	v_lshlrev_b32_e32 v8, 4, v8
	scratch_store_b32 off, v8, off offset:1932 ; 4-byte Folded Spill
	ds_store_b128 v8, v[84:87] offset:34560
	ds_store_b128 v8, v[0:3] offset:36000
	;; [unrolled: 1-line block ×3, first 2 shown]
	v_add_co_u32 v0, vcc_lo, 0x1040, v10
	v_add_co_ci_u32_e32 v1, vcc_lo, 0, v11, vcc_lo
	v_add_co_u32 v8, vcc_lo, 0x1000, v10
	v_add_co_ci_u32_e32 v9, vcc_lo, 0, v11, vcc_lo
	s_waitcnt lgkmcnt(0)
	s_waitcnt_vscnt null, 0x0
	s_barrier
	buffer_gl0_inv
	s_clause 0x1
	global_load_b128 v[18:21], v[0:1], off offset:16
	global_load_b128 v[14:17], v[8:9], off offset:64
	s_waitcnt vmcnt(1)
	v_mov_b32_e32 v23, v21
	s_waitcnt vmcnt(0)
	scratch_store_b128 off, v[14:17], off offset:528 ; 16-byte Folded Spill
	ds_load_b128 v[0:3], v152 offset:12960
	ds_load_b128 v[4:7], v152 offset:14256
	v_dual_mov_b32 v22, v20 :: v_dual_mov_b32 v21, v19
	v_mov_b32_e32 v20, v18
	s_waitcnt lgkmcnt(1)
	v_mul_f64 v[12:13], v[2:3], v[16:17]
	s_delay_alu instid0(VALU_DEP_1) | instskip(SKIP_1) | instid1(VALU_DEP_1)
	v_fma_f64 v[12:13], v[0:1], v[14:15], -v[12:13]
	v_mul_f64 v[0:1], v[0:1], v[16:17]
	v_fma_f64 v[28:29], v[2:3], v[14:15], v[0:1]
	ds_load_b128 v[0:3], v152 offset:25920
	ds_load_b128 v[14:17], v152 offset:27216
	scratch_store_b128 off, v[20:23], off offset:512 ; 16-byte Folded Spill
	s_waitcnt lgkmcnt(1)
	v_mul_f64 v[18:19], v[2:3], v[22:23]
	s_delay_alu instid0(VALU_DEP_1) | instskip(SKIP_1) | instid1(VALU_DEP_1)
	v_fma_f64 v[30:31], v[0:1], v[20:21], -v[18:19]
	v_mul_f64 v[0:1], v[0:1], v[22:23]
	v_fma_f64 v[32:33], v[2:3], v[20:21], v[0:1]
	v_lshlrev_b32_e32 v0, 5, v191
	v_lshlrev_b32_e32 v3, 5, v56
	s_delay_alu instid0(VALU_DEP_2) | instskip(NEXT) | instid1(VALU_DEP_1)
	v_add_co_u32 v147, s28, s10, v0
	v_add_co_ci_u32_e64 v0, null, s11, 0, s28
	s_delay_alu instid0(VALU_DEP_3) | instskip(NEXT) | instid1(VALU_DEP_3)
	v_add_co_u32 v66, s28, s10, v3
	v_add_co_u32 v1, vcc_lo, 0x1000, v147
	v_add_co_ci_u32_e64 v132, null, s11, 0, s28
	s_delay_alu instid0(VALU_DEP_4) | instskip(NEXT) | instid1(VALU_DEP_4)
	v_add_co_ci_u32_e32 v2, vcc_lo, 0, v0, vcc_lo
	v_add_co_u32 v18, vcc_lo, 0x1040, v66
	s_delay_alu instid0(VALU_DEP_3)
	v_add_co_ci_u32_e32 v19, vcc_lo, 0, v132, vcc_lo
	s_clause 0x1
	global_load_b128 v[38:41], v[1:2], off offset:64
	global_load_b128 v[23:26], v[18:19], off offset:16
	s_waitcnt vmcnt(1)
	v_mul_f64 v[1:2], v[6:7], v[40:41]
	scratch_store_b128 off, v[38:41], off offset:544 ; 16-byte Folded Spill
	v_fma_f64 v[34:35], v[4:5], v[38:39], -v[1:2]
	v_mul_f64 v[1:2], v[4:5], v[40:41]
	s_delay_alu instid0(VALU_DEP_1)
	v_fma_f64 v[38:39], v[6:7], v[38:39], v[1:2]
	v_add_co_u32 v1, vcc_lo, 0x1040, v147
	v_add_co_ci_u32_e32 v2, vcc_lo, 0, v0, vcc_lo
	s_clause 0x1
	global_load_b128 v[1:4], v[1:2], off offset:16
	global_load_b128 v[42:45], v[8:9], off offset:1792
	v_cmp_gt_u16_e32 vcc_lo, 27, v113
	s_waitcnt vmcnt(1)
	v_mov_b32_e32 v6, v4
	v_dual_mov_b32 v5, v3 :: v_dual_mov_b32 v4, v2
	v_mov_b32_e32 v3, v1
	s_waitcnt lgkmcnt(0)
	s_delay_alu instid0(VALU_DEP_2) | instskip(SKIP_3) | instid1(VALU_DEP_1)
	v_mul_f64 v[1:2], v[16:17], v[5:6]
	scratch_store_b128 off, v[3:6], off offset:576 ; 16-byte Folded Spill
	v_fma_f64 v[7:8], v[14:15], v[3:4], -v[1:2]
	v_mul_f64 v[1:2], v[14:15], v[5:6]
	v_fma_f64 v[40:41], v[16:17], v[3:4], v[1:2]
	scratch_load_b32 v3, off, off offset:592 ; 4-byte Folded Reload
	v_add_co_u32 v1, s28, 0xffffffe5, v174
	s_delay_alu instid0(VALU_DEP_1) | instskip(SKIP_1) | instid1(VALU_DEP_1)
	v_add_co_ci_u32_e64 v2, null, 0, -1, s28
	s_waitcnt vmcnt(0)
	v_dual_cndmask_b32 v54, v1, v153 :: v_dual_cndmask_b32 v55, v2, v3
	s_delay_alu instid0(VALU_DEP_1) | instskip(NEXT) | instid1(VALU_DEP_1)
	v_lshlrev_b64 v[1:2], 5, v[54:55]
	v_add_co_u32 v9, vcc_lo, s10, v1
	s_delay_alu instid0(VALU_DEP_2) | instskip(SKIP_2) | instid1(VALU_DEP_4)
	v_add_co_ci_u32_e32 v22, vcc_lo, s11, v2, vcc_lo
	v_add_co_u32 v1, vcc_lo, 0x1000, v66
	v_add_co_ci_u32_e32 v2, vcc_lo, 0, v132, vcc_lo
	v_add_co_u32 v3, vcc_lo, 0x1040, v9
	s_delay_alu instid0(VALU_DEP_4)
	v_add_co_ci_u32_e32 v4, vcc_lo, 0, v22, vcc_lo
	s_clause 0x1
	global_load_b128 v[18:21], v[1:2], off offset:64
	global_load_b128 v[46:49], v[3:4], off offset:16
	s_waitcnt vmcnt(1)
	scratch_store_b128 off, v[18:21], off offset:592 ; 16-byte Folded Spill
	ds_load_b128 v[1:4], v152 offset:15552
	ds_load_b128 v[14:17], v152 offset:16848
	s_waitcnt lgkmcnt(1)
	v_mul_f64 v[5:6], v[3:4], v[20:21]
	s_delay_alu instid0(VALU_DEP_1) | instskip(SKIP_1) | instid1(VALU_DEP_1)
	v_fma_f64 v[50:51], v[1:2], v[18:19], -v[5:6]
	v_mul_f64 v[1:2], v[1:2], v[20:21]
	v_fma_f64 v[52:53], v[3:4], v[18:19], v[1:2]
	ds_load_b128 v[1:4], v152 offset:28512
	ds_load_b128 v[18:21], v152 offset:29808
	scratch_store_b128 off, v[23:26], off offset:560 ; 16-byte Folded Spill
	s_waitcnt lgkmcnt(1)
	v_mul_f64 v[5:6], v[3:4], v[25:26]
	s_delay_alu instid0(VALU_DEP_1) | instskip(SKIP_1) | instid1(VALU_DEP_1)
	v_fma_f64 v[56:57], v[1:2], v[23:24], -v[5:6]
	v_mul_f64 v[1:2], v[1:2], v[25:26]
	v_fma_f64 v[58:59], v[3:4], v[23:24], v[1:2]
	v_add_co_u32 v1, vcc_lo, 0x1000, v9
	v_add_co_ci_u32_e32 v2, vcc_lo, 0, v22, vcc_lo
	v_add_co_u32 v3, vcc_lo, 0x1700, v10
	v_add_co_ci_u32_e32 v4, vcc_lo, 0, v11, vcc_lo
	s_clause 0x1
	global_load_b128 v[22:25], v[1:2], off offset:64
	global_load_b128 v[71:74], v[3:4], off offset:16
	s_waitcnt vmcnt(2)
	scratch_store_b128 off, v[46:49], off offset:624 ; 16-byte Folded Spill
	s_waitcnt vmcnt(1)
	v_mul_f64 v[1:2], v[16:17], v[24:25]
	scratch_store_b128 off, v[22:25], off offset:608 ; 16-byte Folded Spill
	v_fma_f64 v[60:61], v[14:15], v[22:23], -v[1:2]
	v_mul_f64 v[1:2], v[14:15], v[24:25]
	s_delay_alu instid0(VALU_DEP_1)
	v_fma_f64 v[62:63], v[16:17], v[22:23], v[1:2]
	s_waitcnt lgkmcnt(0)
	v_mul_f64 v[1:2], v[20:21], v[48:49]
	ds_load_b128 v[3:6], v152 offset:18144
	ds_load_b128 v[14:17], v152 offset:19440
	scratch_store_b128 off, v[42:45], off offset:640 ; 16-byte Folded Spill
	v_fma_f64 v[67:68], v[18:19], v[46:47], -v[1:2]
	v_mul_f64 v[1:2], v[18:19], v[48:49]
	s_delay_alu instid0(VALU_DEP_1)
	v_fma_f64 v[69:70], v[20:21], v[46:47], v[1:2]
	s_waitcnt lgkmcnt(1)
	v_mul_f64 v[1:2], v[5:6], v[44:45]
	ds_load_b128 v[18:21], v152 offset:31104
	ds_load_b128 v[22:25], v152 offset:32400
	s_waitcnt vmcnt(0)
	scratch_store_b128 off, v[71:74], off offset:656 ; 16-byte Folded Spill
	v_fma_f64 v[1:2], v[3:4], v[42:43], -v[1:2]
	v_mul_f64 v[3:4], v[3:4], v[44:45]
	s_delay_alu instid0(VALU_DEP_1) | instskip(SKIP_2) | instid1(VALU_DEP_1)
	v_fma_f64 v[3:4], v[5:6], v[42:43], v[3:4]
	s_waitcnt lgkmcnt(1)
	v_mul_f64 v[5:6], v[20:21], v[73:74]
	v_fma_f64 v[79:80], v[18:19], v[71:72], -v[5:6]
	v_mul_f64 v[5:6], v[18:19], v[73:74]
	s_delay_alu instid0(VALU_DEP_1)
	v_fma_f64 v[81:82], v[20:21], v[71:72], v[5:6]
	v_add_co_u32 v5, vcc_lo, 0x2000, v10
	v_add_co_ci_u32_e32 v6, vcc_lo, 0, v11, vcc_lo
	v_add_co_u32 v18, vcc_lo, 0x2120, v10
	v_add_co_ci_u32_e32 v19, vcc_lo, 0, v11, vcc_lo
	s_clause 0x1
	global_load_b128 v[42:45], v[5:6], off offset:288
	global_load_b128 v[18:21], v[18:19], off offset:16
	s_waitcnt vmcnt(1)
	v_mul_f64 v[5:6], v[16:17], v[44:45]
	scratch_store_b128 off, v[42:45], off offset:688 ; 16-byte Folded Spill
	s_waitcnt vmcnt(0)
	scratch_store_b128 off, v[18:21], off offset:672 ; 16-byte Folded Spill
	v_fma_f64 v[84:85], v[14:15], v[42:43], -v[5:6]
	v_mul_f64 v[5:6], v[14:15], v[44:45]
	s_delay_alu instid0(VALU_DEP_1) | instskip(SKIP_2) | instid1(VALU_DEP_1)
	v_fma_f64 v[14:15], v[16:17], v[42:43], v[5:6]
	s_waitcnt lgkmcnt(0)
	v_mul_f64 v[5:6], v[24:25], v[20:21]
	v_fma_f64 v[86:87], v[22:23], v[18:19], -v[5:6]
	v_mul_f64 v[5:6], v[22:23], v[20:21]
	s_delay_alu instid0(VALU_DEP_1) | instskip(SKIP_1) | instid1(VALU_DEP_1)
	v_fma_f64 v[88:89], v[24:25], v[18:19], v[5:6]
	v_mul_u32_u24_e32 v5, 0x795d, v104
	v_lshrrev_b32_e32 v133, 23, v5
	s_delay_alu instid0(VALU_DEP_1) | instskip(NEXT) | instid1(VALU_DEP_1)
	v_mul_lo_u16 v5, 0x10e, v133
	v_sub_nc_u16 v146, v176, v5
	s_delay_alu instid0(VALU_DEP_1) | instskip(NEXT) | instid1(VALU_DEP_1)
	v_lshlrev_b16 v5, 5, v146
	v_and_b32_e32 v5, 0xffff, v5
	s_delay_alu instid0(VALU_DEP_1) | instskip(NEXT) | instid1(VALU_DEP_1)
	v_add_co_u32 v9, s28, s10, v5
	v_add_co_ci_u32_e64 v17, null, s11, 0, s28
	s_delay_alu instid0(VALU_DEP_2) | instskip(NEXT) | instid1(VALU_DEP_2)
	v_add_co_u32 v5, vcc_lo, 0x1000, v9
	v_add_co_ci_u32_e32 v6, vcc_lo, 0, v17, vcc_lo
	v_add_co_u32 v16, vcc_lo, 0x1040, v9
	v_add_co_ci_u32_e32 v17, vcc_lo, 0, v17, vcc_lo
	s_clause 0x1
	global_load_b128 v[24:27], v[5:6], off offset:64
	global_load_b128 v[42:45], v[16:17], off offset:16
	ds_load_b128 v[16:19], v152 offset:20736
	ds_load_b128 v[20:23], v152 offset:22032
	s_waitcnt vmcnt(1) lgkmcnt(1)
	v_mul_f64 v[5:6], v[18:19], v[26:27]
	scratch_store_b128 off, v[24:27], off offset:704 ; 16-byte Folded Spill
	v_fma_f64 v[100:101], v[16:17], v[24:25], -v[5:6]
	v_mul_f64 v[5:6], v[16:17], v[26:27]
	s_delay_alu instid0(VALU_DEP_1)
	v_fma_f64 v[102:103], v[18:19], v[24:25], v[5:6]
	ds_load_b128 v[16:19], v152 offset:33696
	ds_load_b128 v[24:27], v152 offset:34992
	s_waitcnt vmcnt(0)
	scratch_store_b128 off, v[42:45], off offset:720 ; 16-byte Folded Spill
	s_waitcnt lgkmcnt(1)
	v_mul_f64 v[5:6], v[18:19], v[44:45]
	s_delay_alu instid0(VALU_DEP_1) | instskip(SKIP_1) | instid1(VALU_DEP_1)
	v_fma_f64 v[107:108], v[16:17], v[42:43], -v[5:6]
	v_mul_f64 v[5:6], v[16:17], v[44:45]
	v_fma_f64 v[109:110], v[18:19], v[42:43], v[5:6]
	v_mul_u32_u24_e32 v5, 0x795d, v106
	s_delay_alu instid0(VALU_DEP_1) | instskip(NEXT) | instid1(VALU_DEP_1)
	v_lshrrev_b32_e32 v5, 23, v5
	v_mul_lo_u16 v5, 0x10e, v5
	s_delay_alu instid0(VALU_DEP_1) | instskip(NEXT) | instid1(VALU_DEP_1)
	v_sub_nc_u16 v55, v37, v5
	v_lshlrev_b16 v5, 5, v55
	s_delay_alu instid0(VALU_DEP_1) | instskip(NEXT) | instid1(VALU_DEP_1)
	v_and_b32_e32 v5, 0xffff, v5
	v_add_co_u32 v9, s28, s10, v5
	s_delay_alu instid0(VALU_DEP_1) | instskip(NEXT) | instid1(VALU_DEP_2)
	v_add_co_ci_u32_e64 v17, null, s11, 0, s28
	v_add_co_u32 v5, vcc_lo, 0x1000, v9
	s_delay_alu instid0(VALU_DEP_2)
	v_add_co_ci_u32_e32 v6, vcc_lo, 0, v17, vcc_lo
	v_add_co_u32 v16, vcc_lo, 0x1040, v9
	v_add_co_ci_u32_e32 v17, vcc_lo, 0, v17, vcc_lo
	s_clause 0x1
	global_load_b128 v[42:45], v[5:6], off offset:64
	global_load_b128 v[16:19], v[16:17], off offset:16
	s_waitcnt vmcnt(1)
	v_mul_f64 v[5:6], v[22:23], v[44:45]
	scratch_store_b128 off, v[42:45], off offset:752 ; 16-byte Folded Spill
	s_waitcnt vmcnt(0)
	scratch_store_b128 off, v[16:19], off offset:736 ; 16-byte Folded Spill
	v_fma_f64 v[111:112], v[20:21], v[42:43], -v[5:6]
	v_mul_f64 v[5:6], v[20:21], v[44:45]
	s_delay_alu instid0(VALU_DEP_1) | instskip(SKIP_2) | instid1(VALU_DEP_1)
	v_fma_f64 v[113:114], v[22:23], v[42:43], v[5:6]
	s_waitcnt lgkmcnt(0)
	v_mul_f64 v[5:6], v[26:27], v[18:19]
	v_fma_f64 v[115:116], v[24:25], v[16:17], -v[5:6]
	v_mul_f64 v[5:6], v[24:25], v[18:19]
	s_delay_alu instid0(VALU_DEP_1) | instskip(SKIP_1) | instid1(VALU_DEP_1)
	v_fma_f64 v[117:118], v[26:27], v[16:17], v[5:6]
	v_mul_u32_u24_e32 v5, 0x795d, v105
	v_lshrrev_b32_e32 v5, 23, v5
	s_delay_alu instid0(VALU_DEP_1) | instskip(NEXT) | instid1(VALU_DEP_1)
	v_mul_lo_u16 v5, 0x10e, v5
	v_sub_nc_u16 v64, v83, v5
	s_delay_alu instid0(VALU_DEP_1) | instskip(NEXT) | instid1(VALU_DEP_1)
	v_lshlrev_b16 v5, 5, v64
	v_and_b32_e32 v5, 0xffff, v5
	s_delay_alu instid0(VALU_DEP_1) | instskip(NEXT) | instid1(VALU_DEP_1)
	v_add_co_u32 v9, s28, s10, v5
	v_add_co_ci_u32_e64 v17, null, s11, 0, s28
	s_delay_alu instid0(VALU_DEP_2) | instskip(NEXT) | instid1(VALU_DEP_2)
	v_add_co_u32 v5, vcc_lo, 0x1000, v9
	v_add_co_ci_u32_e32 v6, vcc_lo, 0, v17, vcc_lo
	v_add_co_u32 v16, vcc_lo, 0x1040, v9
	v_add_co_ci_u32_e32 v17, vcc_lo, 0, v17, vcc_lo
	s_clause 0x1
	global_load_b128 v[24:27], v[5:6], off offset:64
	global_load_b128 v[42:45], v[16:17], off offset:16
	ds_load_b128 v[16:19], v152 offset:23328
	ds_load_b128 v[20:23], v152 offset:24624
	s_waitcnt vmcnt(1) lgkmcnt(1)
	v_mul_f64 v[5:6], v[18:19], v[26:27]
	scratch_store_b128 off, v[24:27], off offset:768 ; 16-byte Folded Spill
	v_fma_f64 v[124:125], v[16:17], v[24:25], -v[5:6]
	v_mul_f64 v[5:6], v[16:17], v[26:27]
	s_delay_alu instid0(VALU_DEP_1) | instskip(SKIP_4) | instid1(VALU_DEP_1)
	v_fma_f64 v[126:127], v[18:19], v[24:25], v[5:6]
	ds_load_b128 v[16:19], v152 offset:36288
	ds_load_b128 v[24:27], v152 offset:37584
	s_waitcnt vmcnt(0) lgkmcnt(1)
	v_mul_f64 v[5:6], v[18:19], v[44:45]
	v_fma_f64 v[128:129], v[16:17], v[42:43], -v[5:6]
	v_mul_f64 v[5:6], v[16:17], v[44:45]
	s_delay_alu instid0(VALU_DEP_1) | instskip(SKIP_1) | instid1(VALU_DEP_1)
	v_fma_f64 v[130:131], v[18:19], v[42:43], v[5:6]
	v_mul_u32_u24_e32 v5, 0x795d, v175
	v_lshrrev_b32_e32 v5, 23, v5
	s_delay_alu instid0(VALU_DEP_1) | instskip(NEXT) | instid1(VALU_DEP_1)
	v_mul_lo_u16 v5, 0x10e, v5
	v_sub_nc_u16 v5, v65, v5
	s_delay_alu instid0(VALU_DEP_1) | instskip(NEXT) | instid1(VALU_DEP_1)
	v_lshlrev_b16 v6, 5, v5
	v_and_b32_e32 v6, 0xffff, v6
	s_delay_alu instid0(VALU_DEP_1) | instskip(NEXT) | instid1(VALU_DEP_1)
	v_add_co_u32 v6, s28, s10, v6
	v_add_co_ci_u32_e64 v9, null, s11, 0, s28
	s_delay_alu instid0(VALU_DEP_2) | instskip(NEXT) | instid1(VALU_DEP_2)
	v_add_co_u32 v16, vcc_lo, 0x1000, v6
	v_add_co_ci_u32_e32 v17, vcc_lo, 0, v9, vcc_lo
	v_add_co_u32 v18, vcc_lo, 0x1040, v6
	v_add_co_ci_u32_e32 v19, vcc_lo, 0, v9, vcc_lo
	v_cmp_lt_u16_e64 vcc_lo, 26, v142
	global_load_b128 v[46:49], v[18:19], off offset:16
	scratch_store_b128 off, v[42:45], off offset:784 ; 16-byte Folded Spill
	global_load_b128 v[42:45], v[16:17], off offset:64
	s_waitcnt vmcnt(1)
	scratch_store_b128 off, v[46:49], off offset:816 ; 16-byte Folded Spill
	s_waitcnt vmcnt(0)
	v_mul_f64 v[16:17], v[22:23], v[44:45]
	scratch_store_b128 off, v[42:45], off offset:832 ; 16-byte Folded Spill
	v_fma_f64 v[134:135], v[20:21], v[42:43], -v[16:17]
	v_mul_f64 v[16:17], v[20:21], v[44:45]
	s_delay_alu instid0(VALU_DEP_1) | instskip(SKIP_2) | instid1(VALU_DEP_1)
	v_fma_f64 v[136:137], v[22:23], v[42:43], v[16:17]
	s_waitcnt lgkmcnt(0)
	v_mul_f64 v[16:17], v[26:27], v[48:49]
	v_fma_f64 v[138:139], v[24:25], v[46:47], -v[16:17]
	v_mul_f64 v[16:17], v[24:25], v[48:49]
	v_add_f64 v[24:25], v[12:13], v[30:31]
	s_delay_alu instid0(VALU_DEP_2)
	v_fma_f64 v[140:141], v[26:27], v[46:47], v[16:17]
	ds_load_b128 v[16:19], v152
	ds_load_b128 v[20:23], v152 offset:1296
	s_waitcnt lgkmcnt(1)
	v_fma_f64 v[26:27], v[24:25], -0.5, v[16:17]
	v_add_f64 v[24:25], v[28:29], v[32:33]
	v_add_f64 v[16:17], v[16:17], v[12:13]
	v_add_f64 v[12:13], v[12:13], -v[30:31]
	s_delay_alu instid0(VALU_DEP_3) | instskip(SKIP_3) | instid1(VALU_DEP_4)
	v_fma_f64 v[42:43], v[24:25], -0.5, v[18:19]
	v_add_f64 v[18:19], v[18:19], v[28:29]
	v_add_f64 v[28:29], v[28:29], -v[32:33]
	v_add_f64 v[16:17], v[16:17], v[30:31]
	v_fma_f64 v[30:31], v[12:13], s[8:9], v[42:43]
	s_delay_alu instid0(VALU_DEP_4) | instskip(NEXT) | instid1(VALU_DEP_4)
	v_add_f64 v[18:19], v[18:19], v[32:33]
	v_fma_f64 v[24:25], v[28:29], s[8:9], v[26:27]
	v_fma_f64 v[28:29], v[28:29], s[2:3], v[26:27]
	;; [unrolled: 1-line block ×3, first 2 shown]
	v_add_f64 v[12:13], v[34:35], v[7:8]
	v_add_f64 v[32:33], v[38:39], v[40:41]
	s_waitcnt lgkmcnt(0)
	s_delay_alu instid0(VALU_DEP_2) | instskip(SKIP_1) | instid1(VALU_DEP_3)
	v_fma_f64 v[12:13], v[12:13], -0.5, v[20:21]
	v_add_f64 v[20:21], v[20:21], v[34:35]
	v_fma_f64 v[42:43], v[32:33], -0.5, v[22:23]
	v_add_f64 v[22:23], v[22:23], v[38:39]
	v_add_f64 v[38:39], v[38:39], -v[40:41]
	s_delay_alu instid0(VALU_DEP_4) | instskip(SKIP_1) | instid1(VALU_DEP_4)
	v_add_f64 v[20:21], v[20:21], v[7:8]
	v_add_f64 v[6:7], v[34:35], -v[7:8]
	v_add_f64 v[22:23], v[22:23], v[40:41]
	s_delay_alu instid0(VALU_DEP_4)
	v_fma_f64 v[33:34], v[38:39], s[8:9], v[12:13]
	v_fma_f64 v[38:39], v[38:39], s[2:3], v[12:13]
	v_add_f64 v[8:9], v[52:53], v[58:59]
	v_fma_f64 v[35:36], v[6:7], s[2:3], v[42:43]
	v_fma_f64 v[40:41], v[6:7], s[8:9], v[42:43]
	ds_load_b128 v[42:45], v152 offset:2592
	ds_load_b128 v[46:49], v152 offset:3888
	v_add_f64 v[6:7], v[50:51], v[56:57]
	ds_load_b128 v[71:74], v152 offset:5184
	ds_load_b128 v[75:78], v152 offset:6480
	;; [unrolled: 1-line block ×4, first 2 shown]
	s_waitcnt lgkmcnt(5)
	v_add_f64 v[12:13], v[44:45], v[52:53]
	v_fma_f64 v[8:9], v[8:9], -0.5, v[44:45]
	v_add_f64 v[52:53], v[52:53], -v[58:59]
	v_fma_f64 v[6:7], v[6:7], -0.5, v[42:43]
	v_add_f64 v[42:43], v[42:43], v[50:51]
	v_add_f64 v[44:45], v[12:13], v[58:59]
	v_add_f64 v[12:13], v[50:51], -v[56:57]
	s_delay_alu instid0(VALU_DEP_4) | instskip(NEXT) | instid1(VALU_DEP_4)
	v_fma_f64 v[50:51], v[52:53], s[8:9], v[6:7]
	v_add_f64 v[42:43], v[42:43], v[56:57]
	v_fma_f64 v[56:57], v[52:53], s[2:3], v[6:7]
	v_add_f64 v[6:7], v[60:61], v[67:68]
	v_fma_f64 v[52:53], v[12:13], s[2:3], v[8:9]
	v_fma_f64 v[58:59], v[12:13], s[8:9], v[8:9]
	v_add_f64 v[8:9], v[62:63], v[69:70]
	s_waitcnt lgkmcnt(4)
	v_add_f64 v[12:13], v[48:49], v[62:63]
	v_add_f64 v[62:63], v[62:63], -v[69:70]
	v_fma_f64 v[6:7], v[6:7], -0.5, v[46:47]
	v_add_f64 v[46:47], v[46:47], v[60:61]
	v_fma_f64 v[8:9], v[8:9], -0.5, v[48:49]
	v_add_f64 v[48:49], v[12:13], v[69:70]
	v_add_f64 v[12:13], v[60:61], -v[67:68]
	v_fma_f64 v[60:61], v[62:63], s[8:9], v[6:7]
	v_add_f64 v[46:47], v[46:47], v[67:68]
	v_fma_f64 v[67:68], v[62:63], s[2:3], v[6:7]
	v_add_f64 v[6:7], v[1:2], v[79:80]
	v_fma_f64 v[62:63], v[12:13], s[2:3], v[8:9]
	v_fma_f64 v[69:70], v[12:13], s[8:9], v[8:9]
	v_add_f64 v[8:9], v[3:4], v[81:82]
	s_waitcnt lgkmcnt(3)
	v_add_f64 v[12:13], v[73:74], v[3:4]
	v_add_f64 v[3:4], v[3:4], -v[81:82]
	v_fma_f64 v[6:7], v[6:7], -0.5, v[71:72]
	v_add_f64 v[71:72], v[71:72], v[1:2]
	v_fma_f64 v[8:9], v[8:9], -0.5, v[73:74]
	v_add_f64 v[73:74], v[12:13], v[81:82]
	v_add_f64 v[12:13], v[1:2], -v[79:80]
	;; [unrolled: 15-line block ×3, first 2 shown]
	v_fma_f64 v[84:85], v[14:15], s[8:9], v[6:7]
	v_add_f64 v[75:76], v[75:76], v[86:87]
	v_fma_f64 v[88:89], v[14:15], s[2:3], v[6:7]
	v_add_f64 v[6:7], v[100:101], v[107:108]
	s_waitcnt lgkmcnt(1)
	v_add_f64 v[14:15], v[92:93], v[100:101]
	v_fma_f64 v[86:87], v[12:13], s[2:3], v[8:9]
	v_fma_f64 v[90:91], v[12:13], s[8:9], v[8:9]
	v_add_f64 v[8:9], v[102:103], v[109:110]
	v_add_f64 v[12:13], v[94:95], v[102:103]
	v_add_f64 v[102:103], v[102:103], -v[109:110]
	v_fma_f64 v[6:7], v[6:7], -0.5, v[92:93]
	v_add_f64 v[92:93], v[14:15], v[107:108]
	s_waitcnt lgkmcnt(0)
	v_add_f64 v[14:15], v[96:97], v[111:112]
	v_fma_f64 v[8:9], v[8:9], -0.5, v[94:95]
	v_add_f64 v[94:95], v[12:13], v[109:110]
	v_add_f64 v[12:13], v[100:101], -v[107:108]
	v_fma_f64 v[100:101], v[102:103], s[8:9], v[6:7]
	v_fma_f64 v[104:105], v[102:103], s[2:3], v[6:7]
	v_add_f64 v[6:7], v[111:112], v[115:116]
	s_delay_alu instid0(VALU_DEP_4)
	v_fma_f64 v[102:103], v[12:13], s[2:3], v[8:9]
	v_fma_f64 v[106:107], v[12:13], s[8:9], v[8:9]
	v_add_f64 v[8:9], v[113:114], v[117:118]
	v_add_f64 v[12:13], v[98:99], v[113:114]
	v_add_f64 v[113:114], v[113:114], -v[117:118]
	v_fma_f64 v[6:7], v[6:7], -0.5, v[96:97]
	v_add_f64 v[96:97], v[14:15], v[115:116]
	v_fma_f64 v[8:9], v[8:9], -0.5, v[98:99]
	v_add_f64 v[98:99], v[12:13], v[117:118]
	v_add_f64 v[12:13], v[111:112], -v[115:116]
	ds_load_b128 v[116:119], v152 offset:10368
	ds_load_b128 v[120:123], v152 offset:11664
	s_waitcnt lgkmcnt(0)
	s_waitcnt_vscnt null, 0x0
	s_barrier
	buffer_gl0_inv
	ds_store_b128 v152, v[16:19]
	ds_store_b128 v152, v[20:23] offset:1296
	ds_store_b128 v152, v[42:45] offset:2592
	;; [unrolled: 1-line block ×8, first 2 shown]
	v_cndmask_b32_e64 v16, 0, 0x32a, vcc_lo
	s_delay_alu instid0(VALU_DEP_1)
	v_add_lshl_u32 v16, v54, v16, 4
	v_fma_f64 v[108:109], v[113:114], s[8:9], v[6:7]
	v_fma_f64 v[112:113], v[113:114], s[2:3], v[6:7]
	v_add_f64 v[6:7], v[124:125], v[128:129]
	scratch_store_b32 off, v16, off offset:1928 ; 4-byte Folded Spill
	ds_store_b128 v16, v[46:49]
	ds_store_b128 v16, v[60:63] offset:4320
	ds_store_b128 v16, v[67:70] offset:8640
	;; [unrolled: 1-line block ×8, first 2 shown]
	v_mad_u16 v1, 0x32a, v133, v146
	v_add_f64 v[14:15], v[116:117], v[124:125]
	s_delay_alu instid0(VALU_DEP_2) | instskip(NEXT) | instid1(VALU_DEP_1)
	v_and_b32_e32 v1, 0xffff, v1
	v_lshlrev_b32_e32 v191, 4, v1
	v_and_b32_e32 v1, 0xffff, v55
	ds_store_b128 v191, v[92:95]
	ds_store_b128 v191, v[100:103] offset:4320
	ds_store_b128 v191, v[104:107] offset:8640
	v_lshlrev_b32_e32 v151, 4, v1
	v_and_b32_e32 v1, 0xffff, v64
	v_fma_f64 v[110:111], v[12:13], s[2:3], v[8:9]
	v_fma_f64 v[114:115], v[12:13], s[8:9], v[8:9]
	v_add_f64 v[8:9], v[126:127], v[130:131]
	v_add_f64 v[12:13], v[118:119], v[126:127]
	v_add_f64 v[126:127], v[126:127], -v[130:131]
	v_lshlrev_b32_e32 v150, 4, v1
	v_and_b32_e32 v1, 0xffff, v5
	ds_store_b128 v151, v[108:111] offset:30240
	ds_store_b128 v151, v[96:99] offset:25920
	;; [unrolled: 1-line block ×3, first 2 shown]
	v_fma_f64 v[6:7], v[6:7], -0.5, v[116:117]
	v_fma_f64 v[8:9], v[8:9], -0.5, v[118:119]
	v_add_f64 v[118:119], v[12:13], v[130:131]
	v_add_f64 v[12:13], v[124:125], -v[128:129]
	v_add_f64 v[116:117], v[14:15], v[128:129]
	v_add_f64 v[14:15], v[120:121], v[134:135]
	v_lshlrev_b32_e32 v149, 4, v1
	v_add_co_u32 v1, vcc_lo, 0x3000, v10
	v_add_co_ci_u32_e32 v2, vcc_lo, 0, v11, vcc_lo
	v_add_co_u32 v3, vcc_lo, 0x3200, v10
	v_add_co_ci_u32_e32 v4, vcc_lo, 0, v11, vcc_lo
	v_fma_f64 v[124:125], v[126:127], s[8:9], v[6:7]
	v_fma_f64 v[128:129], v[126:127], s[2:3], v[6:7]
	v_add_f64 v[6:7], v[134:135], v[138:139]
	v_fma_f64 v[126:127], v[12:13], s[2:3], v[8:9]
	v_fma_f64 v[130:131], v[12:13], s[8:9], v[8:9]
	v_add_f64 v[8:9], v[136:137], v[140:141]
	v_add_f64 v[12:13], v[122:123], v[136:137]
	v_add_f64 v[136:137], v[136:137], -v[140:141]
	v_add_f64 v[134:135], v[134:135], -v[138:139]
	ds_store_b128 v150, v[116:119] offset:25920
	ds_store_b128 v150, v[124:127] offset:30240
	;; [unrolled: 1-line block ×3, first 2 shown]
	v_fma_f64 v[6:7], v[6:7], -0.5, v[120:121]
	v_add_f64 v[120:121], v[14:15], v[138:139]
	v_fma_f64 v[8:9], v[8:9], -0.5, v[122:123]
	v_add_f64 v[122:123], v[12:13], v[140:141]
	s_delay_alu instid0(VALU_DEP_4) | instskip(SKIP_1) | instid1(VALU_DEP_4)
	v_fma_f64 v[12:13], v[136:137], s[8:9], v[6:7]
	v_fma_f64 v[6:7], v[136:137], s[2:3], v[6:7]
	;; [unrolled: 1-line block ×4, first 2 shown]
	ds_store_b128 v149, v[120:123] offset:25920
	ds_store_b128 v149, v[12:15] offset:30240
	;; [unrolled: 1-line block ×3, first 2 shown]
	s_waitcnt lgkmcnt(0)
	s_waitcnt_vscnt null, 0x0
	s_barrier
	buffer_gl0_inv
	s_clause 0x1
	global_load_b128 v[22:25], v[1:2], off offset:512
	global_load_b128 v[14:17], v[3:4], off offset:16
	ds_load_b128 v[1:4], v152 offset:12960
	ds_load_b128 v[6:9], v152 offset:14256
	s_waitcnt vmcnt(1) lgkmcnt(1)
	v_mul_f64 v[10:11], v[3:4], v[24:25]
	scratch_store_b128 off, v[22:25], off offset:800 ; 16-byte Folded Spill
	s_waitcnt vmcnt(0)
	v_mov_b32_e32 v19, v17
	v_dual_mov_b32 v18, v16 :: v_dual_mov_b32 v17, v15
	v_mov_b32_e32 v16, v14
	v_fma_f64 v[20:21], v[1:2], v[22:23], -v[10:11]
	v_mul_f64 v[1:2], v[1:2], v[24:25]
	s_delay_alu instid0(VALU_DEP_1)
	v_fma_f64 v[2:3], v[3:4], v[22:23], v[1:2]
	ds_load_b128 v[10:13], v152 offset:25920
	ds_load_b128 v[22:25], v152 offset:27216
	scratch_store_b128 off, v[16:19], off offset:848 ; 16-byte Folded Spill
	s_waitcnt lgkmcnt(1)
	v_mul_f64 v[4:5], v[12:13], v[18:19]
	s_delay_alu instid0(VALU_DEP_1) | instskip(SKIP_1) | instid1(VALU_DEP_1)
	v_fma_f64 v[14:15], v[10:11], v[16:17], -v[4:5]
	v_mul_f64 v[4:5], v[10:11], v[18:19]
	v_fma_f64 v[18:19], v[12:13], v[16:17], v[4:5]
	v_add_co_u32 v4, vcc_lo, 0x3000, v147
	v_add_co_ci_u32_e32 v5, vcc_lo, 0, v0, vcc_lo
	v_add_co_u32 v10, vcc_lo, 0x3200, v147
	v_add_co_ci_u32_e32 v11, vcc_lo, 0, v0, vcc_lo
	s_clause 0x1
	global_load_b128 v[26:29], v[4:5], off offset:512
	global_load_b128 v[10:13], v[10:11], off offset:16
	s_waitcnt vmcnt(1)
	v_mul_f64 v[0:1], v[8:9], v[28:29]
	scratch_store_b128 off, v[26:29], off offset:880 ; 16-byte Folded Spill
	s_waitcnt vmcnt(0)
	scratch_store_b128 off, v[10:13], off offset:864 ; 16-byte Folded Spill
	v_fma_f64 v[4:5], v[6:7], v[26:27], -v[0:1]
	v_mul_f64 v[0:1], v[6:7], v[28:29]
	s_delay_alu instid0(VALU_DEP_1) | instskip(SKIP_2) | instid1(VALU_DEP_1)
	v_fma_f64 v[8:9], v[8:9], v[26:27], v[0:1]
	s_waitcnt lgkmcnt(0)
	v_mul_f64 v[0:1], v[24:25], v[12:13]
	v_fma_f64 v[6:7], v[22:23], v[10:11], -v[0:1]
	v_mul_f64 v[0:1], v[22:23], v[12:13]
	s_delay_alu instid0(VALU_DEP_1)
	v_fma_f64 v[10:11], v[24:25], v[10:11], v[0:1]
	v_add_co_u32 v0, vcc_lo, 0x3000, v66
	v_add_co_ci_u32_e32 v1, vcc_lo, 0, v132, vcc_lo
	v_add_co_u32 v12, vcc_lo, 0x3200, v66
	v_add_co_ci_u32_e32 v13, vcc_lo, 0, v132, vcc_lo
	s_clause 0x1
	global_load_b128 v[30:33], v[0:1], off offset:512
	global_load_b128 v[43:46], v[12:13], off offset:16
	ds_load_b128 v[22:25], v152 offset:15552
	ds_load_b128 v[26:29], v152 offset:16848
	s_waitcnt vmcnt(1) lgkmcnt(1)
	v_mul_f64 v[0:1], v[24:25], v[32:33]
	scratch_store_b128 off, v[30:33], off offset:900 ; 16-byte Folded Spill
	v_fma_f64 v[12:13], v[22:23], v[30:31], -v[0:1]
	v_mul_f64 v[0:1], v[22:23], v[32:33]
	s_delay_alu instid0(VALU_DEP_1) | instskip(SKIP_4) | instid1(VALU_DEP_1)
	v_fma_f64 v[16:17], v[24:25], v[30:31], v[0:1]
	ds_load_b128 v[22:25], v152 offset:28512
	ds_load_b128 v[33:36], v152 offset:29808
	s_waitcnt vmcnt(0) lgkmcnt(1)
	v_mul_f64 v[0:1], v[24:25], v[45:46]
	v_fma_f64 v[30:31], v[22:23], v[43:44], -v[0:1]
	v_mul_f64 v[0:1], v[22:23], v[45:46]
	s_delay_alu instid0(VALU_DEP_1) | instskip(SKIP_1) | instid1(VALU_DEP_1)
	v_fma_f64 v[41:42], v[24:25], v[43:44], v[0:1]
	v_lshlrev_b32_e32 v0, 5, v153
	v_add_co_u32 v22, s28, s10, v0
	s_delay_alu instid0(VALU_DEP_1) | instskip(NEXT) | instid1(VALU_DEP_2)
	v_add_co_ci_u32_e64 v23, null, s11, 0, s28
	v_add_co_u32 v0, vcc_lo, 0x3000, v22
	s_delay_alu instid0(VALU_DEP_2)
	v_add_co_ci_u32_e32 v1, vcc_lo, 0, v23, vcc_lo
	v_add_co_u32 v22, vcc_lo, 0x3200, v22
	v_add_co_ci_u32_e32 v23, vcc_lo, 0, v23, vcc_lo
	s_clause 0x1
	global_load_b128 v[47:50], v[0:1], off offset:512
	global_load_b128 v[22:25], v[22:23], off offset:16
	scratch_store_b128 off, v[43:46], off offset:920 ; 16-byte Folded Spill
	s_waitcnt vmcnt(1)
	v_mul_f64 v[0:1], v[28:29], v[49:50]
	scratch_store_b128 off, v[47:50], off offset:956 ; 16-byte Folded Spill
	s_waitcnt vmcnt(0)
	scratch_store_b128 off, v[22:25], off offset:940 ; 16-byte Folded Spill
	v_fma_f64 v[45:46], v[26:27], v[47:48], -v[0:1]
	v_mul_f64 v[0:1], v[26:27], v[49:50]
	s_delay_alu instid0(VALU_DEP_1) | instskip(SKIP_2) | instid1(VALU_DEP_1)
	v_fma_f64 v[47:48], v[28:29], v[47:48], v[0:1]
	s_waitcnt lgkmcnt(0)
	v_mul_f64 v[0:1], v[35:36], v[24:25]
	v_fma_f64 v[49:50], v[33:34], v[22:23], -v[0:1]
	v_mul_f64 v[0:1], v[33:34], v[24:25]
	s_delay_alu instid0(VALU_DEP_1) | instskip(SKIP_1) | instid1(VALU_DEP_1)
	v_fma_f64 v[51:52], v[35:36], v[22:23], v[0:1]
	v_lshlrev_b32_e32 v0, 5, v185
	v_add_co_u32 v22, s28, s10, v0
	s_delay_alu instid0(VALU_DEP_1) | instskip(NEXT) | instid1(VALU_DEP_2)
	v_add_co_ci_u32_e64 v23, null, s11, 0, s28
	v_add_co_u32 v0, vcc_lo, 0x3000, v22
	s_delay_alu instid0(VALU_DEP_2)
	v_add_co_ci_u32_e32 v1, vcc_lo, 0, v23, vcc_lo
	v_add_co_u32 v22, vcc_lo, 0x3200, v22
	v_add_co_ci_u32_e32 v23, vcc_lo, 0, v23, vcc_lo
	s_clause 0x1
	global_load_b128 v[32:35], v[0:1], off offset:512
	global_load_b128 v[53:56], v[22:23], off offset:16
	ds_load_b128 v[22:25], v152 offset:18144
	ds_load_b128 v[26:29], v152 offset:19440
	s_waitcnt vmcnt(1) lgkmcnt(1)
	v_mul_f64 v[0:1], v[24:25], v[34:35]
	scratch_store_b128 off, v[32:35], off offset:980 ; 16-byte Folded Spill
	v_fma_f64 v[61:62], v[22:23], v[32:33], -v[0:1]
	v_mul_f64 v[0:1], v[22:23], v[34:35]
	s_delay_alu instid0(VALU_DEP_1) | instskip(SKIP_4) | instid1(VALU_DEP_1)
	v_fma_f64 v[63:64], v[24:25], v[32:33], v[0:1]
	ds_load_b128 v[22:25], v152 offset:31104
	ds_load_b128 v[33:36], v152 offset:32400
	s_waitcnt vmcnt(0) lgkmcnt(1)
	v_mul_f64 v[0:1], v[24:25], v[55:56]
	v_fma_f64 v[66:67], v[22:23], v[53:54], -v[0:1]
	v_mul_f64 v[0:1], v[22:23], v[55:56]
	s_delay_alu instid0(VALU_DEP_1) | instskip(SKIP_1) | instid1(VALU_DEP_1)
	v_fma_f64 v[68:69], v[24:25], v[53:54], v[0:1]
	v_lshlrev_b32_e32 v0, 5, v190
	v_add_co_u32 v22, s28, s10, v0
	s_delay_alu instid0(VALU_DEP_1) | instskip(NEXT) | instid1(VALU_DEP_2)
	v_add_co_ci_u32_e64 v23, null, s11, 0, s28
	v_add_co_u32 v0, vcc_lo, 0x3000, v22
	s_delay_alu instid0(VALU_DEP_2)
	v_add_co_ci_u32_e32 v1, vcc_lo, 0, v23, vcc_lo
	v_add_co_u32 v22, vcc_lo, 0x3200, v22
	v_add_co_ci_u32_e32 v23, vcc_lo, 0, v23, vcc_lo
	global_load_b128 v[22:25], v[22:23], off offset:16
	scratch_store_b128 off, v[53:56], off offset:996 ; 16-byte Folded Spill
	global_load_b128 v[53:56], v[0:1], off offset:512
	s_waitcnt vmcnt(1)
	scratch_store_b128 off, v[22:25], off offset:1016 ; 16-byte Folded Spill
	s_waitcnt vmcnt(0)
	v_mul_f64 v[0:1], v[28:29], v[55:56]
	scratch_store_b128 off, v[53:56], off offset:1032 ; 16-byte Folded Spill
	v_fma_f64 v[70:71], v[26:27], v[53:54], -v[0:1]
	v_mul_f64 v[0:1], v[26:27], v[55:56]
	s_delay_alu instid0(VALU_DEP_1) | instskip(SKIP_2) | instid1(VALU_DEP_1)
	v_fma_f64 v[72:73], v[28:29], v[53:54], v[0:1]
	s_waitcnt lgkmcnt(0)
	v_mul_f64 v[0:1], v[35:36], v[24:25]
	v_fma_f64 v[74:75], v[33:34], v[22:23], -v[0:1]
	v_mul_f64 v[0:1], v[33:34], v[24:25]
	s_delay_alu instid0(VALU_DEP_1) | instskip(SKIP_1) | instid1(VALU_DEP_1)
	v_fma_f64 v[76:77], v[35:36], v[22:23], v[0:1]
	v_lshlrev_b32_e32 v0, 5, v176
	v_add_co_u32 v22, s28, s10, v0
	s_delay_alu instid0(VALU_DEP_1) | instskip(NEXT) | instid1(VALU_DEP_2)
	v_add_co_ci_u32_e64 v23, null, s11, 0, s28
	v_add_co_u32 v0, vcc_lo, 0x3000, v22
	s_delay_alu instid0(VALU_DEP_2)
	v_add_co_ci_u32_e32 v1, vcc_lo, 0, v23, vcc_lo
	v_add_co_u32 v22, vcc_lo, 0x3200, v22
	v_add_co_ci_u32_e32 v23, vcc_lo, 0, v23, vcc_lo
	s_clause 0x1
	global_load_b128 v[32:35], v[0:1], off offset:512
	global_load_b128 v[53:56], v[22:23], off offset:16
	ds_load_b128 v[22:25], v152 offset:20736
	ds_load_b128 v[26:29], v152 offset:22032
	s_waitcnt vmcnt(1) lgkmcnt(1)
	v_mul_f64 v[0:1], v[24:25], v[34:35]
	scratch_store_b128 off, v[32:35], off offset:1148 ; 16-byte Folded Spill
	v_fma_f64 v[85:86], v[22:23], v[32:33], -v[0:1]
	v_mul_f64 v[0:1], v[22:23], v[34:35]
	s_delay_alu instid0(VALU_DEP_1) | instskip(SKIP_4) | instid1(VALU_DEP_1)
	v_fma_f64 v[87:88], v[24:25], v[32:33], v[0:1]
	ds_load_b128 v[22:25], v152 offset:33696
	ds_load_b128 v[33:36], v152 offset:34992
	s_waitcnt vmcnt(0) lgkmcnt(1)
	v_mul_f64 v[0:1], v[24:25], v[55:56]
	v_fma_f64 v[89:90], v[22:23], v[53:54], -v[0:1]
	v_mul_f64 v[0:1], v[22:23], v[55:56]
	s_delay_alu instid0(VALU_DEP_1) | instskip(SKIP_1) | instid1(VALU_DEP_1)
	v_fma_f64 v[91:92], v[24:25], v[53:54], v[0:1]
	v_lshlrev_b32_e32 v0, 5, v37
	v_add_co_u32 v22, s28, s10, v0
	s_delay_alu instid0(VALU_DEP_1) | instskip(NEXT) | instid1(VALU_DEP_2)
	v_add_co_ci_u32_e64 v23, null, s11, 0, s28
	v_add_co_u32 v0, vcc_lo, 0x3000, v22
	s_delay_alu instid0(VALU_DEP_2)
	v_add_co_ci_u32_e32 v1, vcc_lo, 0, v23, vcc_lo
	v_add_co_u32 v22, vcc_lo, 0x3200, v22
	v_add_co_ci_u32_e32 v23, vcc_lo, 0, v23, vcc_lo
	s_clause 0x1
	global_load_b128 v[37:40], v[0:1], off offset:512
	global_load_b128 v[22:25], v[22:23], off offset:16
	scratch_store_b128 off, v[53:56], off offset:1168 ; 16-byte Folded Spill
	s_waitcnt vmcnt(1)
	v_mul_f64 v[0:1], v[28:29], v[39:40]
	scratch_store_b128 off, v[37:40], off offset:1200 ; 16-byte Folded Spill
	s_waitcnt vmcnt(0)
	scratch_store_b128 off, v[22:25], off offset:1184 ; 16-byte Folded Spill
	v_fma_f64 v[93:94], v[26:27], v[37:38], -v[0:1]
	v_mul_f64 v[0:1], v[26:27], v[39:40]
	s_delay_alu instid0(VALU_DEP_1) | instskip(SKIP_2) | instid1(VALU_DEP_1)
	v_fma_f64 v[95:96], v[28:29], v[37:38], v[0:1]
	s_waitcnt lgkmcnt(0)
	v_mul_f64 v[0:1], v[35:36], v[24:25]
	v_fma_f64 v[97:98], v[33:34], v[22:23], -v[0:1]
	v_mul_f64 v[0:1], v[33:34], v[24:25]
	s_delay_alu instid0(VALU_DEP_1) | instskip(SKIP_1) | instid1(VALU_DEP_1)
	v_fma_f64 v[99:100], v[35:36], v[22:23], v[0:1]
	v_lshlrev_b32_e32 v0, 5, v83
	v_add_co_u32 v22, s28, s10, v0
	s_delay_alu instid0(VALU_DEP_1) | instskip(NEXT) | instid1(VALU_DEP_2)
	v_add_co_ci_u32_e64 v23, null, s11, 0, s28
	v_add_co_u32 v0, vcc_lo, 0x3000, v22
	s_delay_alu instid0(VALU_DEP_2)
	v_add_co_ci_u32_e32 v1, vcc_lo, 0, v23, vcc_lo
	v_add_co_u32 v22, vcc_lo, 0x3200, v22
	v_add_co_ci_u32_e32 v23, vcc_lo, 0, v23, vcc_lo
	s_clause 0x1
	global_load_b128 v[32:35], v[0:1], off offset:512
	global_load_b128 v[37:40], v[22:23], off offset:16
	ds_load_b128 v[22:25], v152 offset:23328
	ds_load_b128 v[26:29], v152 offset:24624
	s_waitcnt vmcnt(1) lgkmcnt(1)
	v_mul_f64 v[0:1], v[24:25], v[34:35]
	scratch_store_b128 off, v[32:35], off offset:1216 ; 16-byte Folded Spill
	v_fma_f64 v[109:110], v[22:23], v[32:33], -v[0:1]
	v_mul_f64 v[0:1], v[22:23], v[34:35]
	s_delay_alu instid0(VALU_DEP_1) | instskip(SKIP_4) | instid1(VALU_DEP_1)
	v_fma_f64 v[111:112], v[24:25], v[32:33], v[0:1]
	ds_load_b128 v[22:25], v152 offset:36288
	ds_load_b128 v[33:36], v152 offset:37584
	s_waitcnt vmcnt(0) lgkmcnt(1)
	v_mul_f64 v[0:1], v[24:25], v[39:40]
	v_fma_f64 v[113:114], v[22:23], v[37:38], -v[0:1]
	v_mul_f64 v[0:1], v[22:23], v[39:40]
	s_delay_alu instid0(VALU_DEP_1) | instskip(SKIP_1) | instid1(VALU_DEP_1)
	v_fma_f64 v[115:116], v[24:25], v[37:38], v[0:1]
	v_lshlrev_b32_e32 v0, 5, v65
	v_add_co_u32 v22, s10, s10, v0
	s_delay_alu instid0(VALU_DEP_1) | instskip(NEXT) | instid1(VALU_DEP_2)
	v_add_co_ci_u32_e64 v23, null, s11, 0, s10
	v_add_co_u32 v0, vcc_lo, 0x3000, v22
	s_delay_alu instid0(VALU_DEP_2)
	v_add_co_ci_u32_e32 v1, vcc_lo, 0, v23, vcc_lo
	v_add_co_u32 v22, vcc_lo, 0x3200, v22
	v_add_co_ci_u32_e32 v23, vcc_lo, 0, v23, vcc_lo
	global_load_b128 v[22:25], v[22:23], off offset:16
	scratch_store_b128 off, v[37:40], off offset:1232 ; 16-byte Folded Spill
	global_load_b128 v[37:40], v[0:1], off offset:512
	s_waitcnt vmcnt(1)
	scratch_store_b128 off, v[22:25], off offset:1248 ; 16-byte Folded Spill
	s_waitcnt vmcnt(0)
	v_mul_f64 v[0:1], v[28:29], v[39:40]
	scratch_store_b128 off, v[37:40], off offset:1264 ; 16-byte Folded Spill
	v_fma_f64 v[117:118], v[26:27], v[37:38], -v[0:1]
	v_mul_f64 v[0:1], v[26:27], v[39:40]
	s_delay_alu instid0(VALU_DEP_1) | instskip(SKIP_2) | instid1(VALU_DEP_1)
	v_fma_f64 v[119:120], v[28:29], v[37:38], v[0:1]
	s_waitcnt lgkmcnt(0)
	v_mul_f64 v[0:1], v[35:36], v[24:25]
	v_fma_f64 v[121:122], v[33:34], v[22:23], -v[0:1]
	v_mul_f64 v[0:1], v[33:34], v[24:25]
	s_delay_alu instid0(VALU_DEP_1)
	v_fma_f64 v[123:124], v[35:36], v[22:23], v[0:1]
	v_add_f64 v[0:1], v[20:21], v[14:15]
	ds_load_b128 v[22:25], v152
	ds_load_b128 v[26:29], v152 offset:1296
	s_waitcnt lgkmcnt(1)
	v_fma_f64 v[32:33], v[0:1], -0.5, v[22:23]
	v_add_f64 v[0:1], v[2:3], v[18:19]
	v_add_f64 v[22:23], v[22:23], v[20:21]
	s_delay_alu instid0(VALU_DEP_2) | instskip(SKIP_2) | instid1(VALU_DEP_2)
	v_fma_f64 v[34:35], v[0:1], -0.5, v[24:25]
	v_add_f64 v[0:1], v[24:25], v[2:3]
	v_add_f64 v[24:25], v[2:3], -v[18:19]
	v_add_f64 v[2:3], v[0:1], v[18:19]
	v_add_f64 v[0:1], v[22:23], v[14:15]
	v_add_f64 v[14:15], v[20:21], -v[14:15]
	s_delay_alu instid0(VALU_DEP_4) | instskip(SKIP_2) | instid1(VALU_DEP_4)
	v_fma_f64 v[18:19], v[24:25], s[8:9], v[32:33]
	v_fma_f64 v[22:23], v[24:25], s[2:3], v[32:33]
	v_add_f64 v[32:33], v[8:9], v[10:11]
	v_fma_f64 v[20:21], v[14:15], s[2:3], v[34:35]
	v_fma_f64 v[24:25], v[14:15], s[8:9], v[34:35]
	v_add_f64 v[14:15], v[4:5], v[6:7]
	s_waitcnt lgkmcnt(0)
	s_delay_alu instid0(VALU_DEP_4) | instskip(SKIP_2) | instid1(VALU_DEP_4)
	v_fma_f64 v[32:33], v[32:33], -0.5, v[28:29]
	v_add_f64 v[28:29], v[28:29], v[8:9]
	v_add_f64 v[34:35], v[8:9], -v[10:11]
	v_fma_f64 v[14:15], v[14:15], -0.5, v[26:27]
	v_add_f64 v[26:27], v[26:27], v[4:5]
	s_delay_alu instid0(VALU_DEP_4) | instskip(SKIP_1) | instid1(VALU_DEP_4)
	v_add_f64 v[10:11], v[28:29], v[10:11]
	v_add_f64 v[28:29], v[4:5], -v[6:7]
	v_fma_f64 v[4:5], v[34:35], s[8:9], v[14:15]
	s_delay_alu instid0(VALU_DEP_4)
	v_add_f64 v[8:9], v[26:27], v[6:7]
	v_fma_f64 v[26:27], v[34:35], s[2:3], v[14:15]
	v_add_f64 v[14:15], v[12:13], v[30:31]
	v_fma_f64 v[6:7], v[28:29], s[2:3], v[32:33]
	v_fma_f64 v[28:29], v[28:29], s[8:9], v[32:33]
	ds_load_b128 v[33:36], v152 offset:2592
	ds_load_b128 v[37:40], v152 offset:3888
	s_waitcnt lgkmcnt(1)
	v_fma_f64 v[43:44], v[14:15], -0.5, v[33:34]
	v_add_f64 v[14:15], v[16:17], v[41:42]
	v_add_f64 v[32:33], v[33:34], v[12:13]
	v_add_f64 v[12:13], v[12:13], -v[30:31]
	s_delay_alu instid0(VALU_DEP_3) | instskip(SKIP_2) | instid1(VALU_DEP_2)
	v_fma_f64 v[53:54], v[14:15], -0.5, v[35:36]
	v_add_f64 v[14:15], v[35:36], v[16:17]
	v_add_f64 v[35:36], v[16:17], -v[41:42]
	v_add_f64 v[16:17], v[14:15], v[41:42]
	v_add_f64 v[14:15], v[32:33], v[30:31]
	;; [unrolled: 1-line block ×3, first 2 shown]
	s_delay_alu instid0(VALU_DEP_4)
	v_fma_f64 v[33:34], v[35:36], s[8:9], v[43:44]
	v_fma_f64 v[41:42], v[35:36], s[2:3], v[43:44]
	;; [unrolled: 1-line block ×4, first 2 shown]
	v_add_f64 v[12:13], v[45:46], v[49:50]
	ds_load_b128 v[53:56], v152 offset:5184
	ds_load_b128 v[57:60], v152 offset:6480
	s_waitcnt lgkmcnt(2)
	v_fma_f64 v[30:31], v[30:31], -0.5, v[39:40]
	v_add_f64 v[39:40], v[39:40], v[47:48]
	v_add_f64 v[47:48], v[47:48], -v[51:52]
	v_fma_f64 v[12:13], v[12:13], -0.5, v[37:38]
	v_add_f64 v[37:38], v[37:38], v[45:46]
	s_delay_alu instid0(VALU_DEP_4) | instskip(SKIP_1) | instid1(VALU_DEP_4)
	v_add_f64 v[39:40], v[39:40], v[51:52]
	v_add_f64 v[51:52], v[45:46], -v[49:50]
	v_fma_f64 v[45:46], v[47:48], s[8:9], v[12:13]
	s_delay_alu instid0(VALU_DEP_4)
	v_add_f64 v[37:38], v[37:38], v[49:50]
	v_fma_f64 v[49:50], v[47:48], s[2:3], v[12:13]
	v_add_f64 v[12:13], v[61:62], v[66:67]
	v_fma_f64 v[47:48], v[51:52], s[2:3], v[30:31]
	v_fma_f64 v[51:52], v[51:52], s[8:9], v[30:31]
	v_add_f64 v[30:31], v[63:64], v[68:69]
	s_waitcnt lgkmcnt(1)
	s_delay_alu instid0(VALU_DEP_4) | instskip(SKIP_1) | instid1(VALU_DEP_3)
	v_fma_f64 v[12:13], v[12:13], -0.5, v[53:54]
	v_add_f64 v[53:54], v[53:54], v[61:62]
	v_fma_f64 v[30:31], v[30:31], -0.5, v[55:56]
	v_add_f64 v[55:56], v[55:56], v[63:64]
	v_add_f64 v[63:64], v[63:64], -v[68:69]
	s_delay_alu instid0(VALU_DEP_4) | instskip(NEXT) | instid1(VALU_DEP_3)
	v_add_f64 v[53:54], v[53:54], v[66:67]
	v_add_f64 v[55:56], v[55:56], v[68:69]
	v_add_f64 v[67:68], v[61:62], -v[66:67]
	s_delay_alu instid0(VALU_DEP_4) | instskip(SKIP_2) | instid1(VALU_DEP_4)
	v_fma_f64 v[61:62], v[63:64], s[8:9], v[12:13]
	v_fma_f64 v[65:66], v[63:64], s[2:3], v[12:13]
	v_add_f64 v[12:13], v[70:71], v[74:75]
	v_fma_f64 v[63:64], v[67:68], s[2:3], v[30:31]
	v_fma_f64 v[67:68], v[67:68], s[8:9], v[30:31]
	v_add_f64 v[30:31], v[72:73], v[76:77]
	s_waitcnt lgkmcnt(0)
	s_delay_alu instid0(VALU_DEP_4) | instskip(SKIP_1) | instid1(VALU_DEP_3)
	v_fma_f64 v[12:13], v[12:13], -0.5, v[57:58]
	v_add_f64 v[57:58], v[57:58], v[70:71]
	v_fma_f64 v[30:31], v[30:31], -0.5, v[59:60]
	v_add_f64 v[59:60], v[59:60], v[72:73]
	v_add_f64 v[72:73], v[72:73], -v[76:77]
	s_delay_alu instid0(VALU_DEP_4) | instskip(NEXT) | instid1(VALU_DEP_3)
	v_add_f64 v[57:58], v[57:58], v[74:75]
	v_add_f64 v[59:60], v[59:60], v[76:77]
	v_add_f64 v[75:76], v[70:71], -v[74:75]
	s_delay_alu instid0(VALU_DEP_4)
	v_fma_f64 v[69:70], v[72:73], s[8:9], v[12:13]
	v_fma_f64 v[73:74], v[72:73], s[2:3], v[12:13]
	ds_load_b128 v[77:80], v152 offset:7776
	ds_load_b128 v[81:84], v152 offset:9072
	v_add_f64 v[12:13], v[85:86], v[89:90]
	ds_load_b128 v[101:104], v152 offset:10368
	ds_load_b128 v[105:108], v152 offset:11664
	v_fma_f64 v[71:72], v[75:76], s[2:3], v[30:31]
	v_fma_f64 v[75:76], v[75:76], s[8:9], v[30:31]
	v_add_f64 v[30:31], v[87:88], v[91:92]
	s_waitcnt lgkmcnt(3)
	v_fma_f64 v[12:13], v[12:13], -0.5, v[77:78]
	v_add_f64 v[77:78], v[77:78], v[85:86]
	s_delay_alu instid0(VALU_DEP_3) | instskip(SKIP_2) | instid1(VALU_DEP_4)
	v_fma_f64 v[30:31], v[30:31], -0.5, v[79:80]
	v_add_f64 v[79:80], v[79:80], v[87:88]
	v_add_f64 v[87:88], v[87:88], -v[91:92]
	v_add_f64 v[77:78], v[77:78], v[89:90]
	s_delay_alu instid0(VALU_DEP_3) | instskip(SKIP_1) | instid1(VALU_DEP_4)
	v_add_f64 v[79:80], v[79:80], v[91:92]
	v_add_f64 v[91:92], v[85:86], -v[89:90]
	v_fma_f64 v[85:86], v[87:88], s[8:9], v[12:13]
	v_fma_f64 v[89:90], v[87:88], s[2:3], v[12:13]
	v_add_f64 v[12:13], v[93:94], v[97:98]
	s_delay_alu instid0(VALU_DEP_4) | instskip(SKIP_3) | instid1(VALU_DEP_4)
	v_fma_f64 v[87:88], v[91:92], s[2:3], v[30:31]
	v_fma_f64 v[91:92], v[91:92], s[8:9], v[30:31]
	v_add_f64 v[30:31], v[95:96], v[99:100]
	s_waitcnt lgkmcnt(2)
	v_fma_f64 v[12:13], v[12:13], -0.5, v[81:82]
	v_add_f64 v[81:82], v[81:82], v[93:94]
	s_delay_alu instid0(VALU_DEP_3) | instskip(SKIP_2) | instid1(VALU_DEP_4)
	v_fma_f64 v[30:31], v[30:31], -0.5, v[83:84]
	v_add_f64 v[83:84], v[83:84], v[95:96]
	v_add_f64 v[95:96], v[95:96], -v[99:100]
	v_add_f64 v[81:82], v[81:82], v[97:98]
	s_delay_alu instid0(VALU_DEP_3) | instskip(SKIP_1) | instid1(VALU_DEP_4)
	v_add_f64 v[83:84], v[83:84], v[99:100]
	v_add_f64 v[99:100], v[93:94], -v[97:98]
	v_fma_f64 v[93:94], v[95:96], s[8:9], v[12:13]
	v_fma_f64 v[97:98], v[95:96], s[2:3], v[12:13]
	v_add_f64 v[12:13], v[109:110], v[113:114]
	s_delay_alu instid0(VALU_DEP_4) | instskip(SKIP_3) | instid1(VALU_DEP_4)
	;; [unrolled: 18-line block ×3, first 2 shown]
	v_fma_f64 v[111:112], v[115:116], s[2:3], v[30:31]
	v_fma_f64 v[115:116], v[115:116], s[8:9], v[30:31]
	v_add_f64 v[30:31], v[119:120], v[123:124]
	s_waitcnt lgkmcnt(0)
	v_fma_f64 v[12:13], v[12:13], -0.5, v[105:106]
	v_add_f64 v[105:106], v[105:106], v[117:118]
	s_delay_alu instid0(VALU_DEP_3) | instskip(SKIP_2) | instid1(VALU_DEP_4)
	v_fma_f64 v[30:31], v[30:31], -0.5, v[107:108]
	v_add_f64 v[107:108], v[107:108], v[119:120]
	v_add_f64 v[119:120], v[119:120], -v[123:124]
	v_add_f64 v[105:106], v[105:106], v[121:122]
	s_delay_alu instid0(VALU_DEP_3) | instskip(SKIP_1) | instid1(VALU_DEP_4)
	v_add_f64 v[107:108], v[107:108], v[123:124]
	v_add_f64 v[123:124], v[117:118], -v[121:122]
	v_fma_f64 v[117:118], v[119:120], s[8:9], v[12:13]
	v_fma_f64 v[121:122], v[119:120], s[2:3], v[12:13]
	s_delay_alu instid0(VALU_DEP_3)
	v_fma_f64 v[119:120], v[123:124], s[2:3], v[30:31]
	v_fma_f64 v[123:124], v[123:124], s[8:9], v[30:31]
	ds_store_b128 v152, v[0:3]
	ds_store_b128 v152, v[8:11] offset:1296
	ds_store_b128 v152, v[14:17] offset:2592
	;; [unrolled: 1-line block ×29, first 2 shown]
	s_clause 0x1
	scratch_load_b32 v16, off, off offset:496
	scratch_load_b32 v17, off, off offset:492
	s_waitcnt vmcnt(0) lgkmcnt(0)
	s_waitcnt_vscnt null, 0x0
	s_barrier
	buffer_gl0_inv
	scratch_load_b64 v[0:1], off, off offset:500 ; 8-byte Folded Reload
	ds_load_b128 v[4:7], v152
	ds_load_b128 v[137:140], v152 offset:1296
	v_add_co_u32 v8, vcc_lo, 0x97e0, v16
	v_add_co_ci_u32_e32 v9, vcc_lo, 0, v17, vcc_lo
	s_waitcnt vmcnt(0)
	s_clause 0x3
	global_load_b128 v[0:3], v[0:1], off offset:2016
	global_load_b128 v[141:144], v[8:9], off offset:1296
	;; [unrolled: 1-line block ×4, first 2 shown]
	v_add_co_u32 v8, vcc_lo, 0xb000, v16
	v_add_co_ci_u32_e32 v9, vcc_lo, 0, v17, vcc_lo
	ds_load_b128 v[22:25], v152 offset:3888
	ds_load_b128 v[133:136], v152 offset:2592
	global_load_b128 v[33:36], v[8:9], off offset:1600
	ds_load_b128 v[37:40], v152 offset:7776
	ds_load_b128 v[41:44], v152 offset:9072
	global_load_b128 v[45:48], v[8:9], off offset:304
	ds_load_b128 v[53:56], v152 offset:11664
	ds_load_b128 v[61:64], v152 offset:10368
	s_waitcnt vmcnt(5) lgkmcnt(7)
	v_mul_f64 v[10:11], v[6:7], v[2:3]
	v_mul_f64 v[2:3], v[4:5], v[2:3]
	s_delay_alu instid0(VALU_DEP_2)
	v_fma_f64 v[173:174], v[4:5], v[0:1], -v[10:11]
	v_add_co_u32 v10, vcc_lo, 0xc000, v16
	v_add_co_ci_u32_e32 v11, vcc_lo, 0, v17, vcc_lo
	v_add_co_u32 v12, vcc_lo, 0xd000, v16
	v_add_co_ci_u32_e32 v13, vcc_lo, 0, v17, vcc_lo
	s_clause 0x1
	global_load_b128 v[49:52], v[10:11], off offset:1392
	global_load_b128 v[57:60], v[10:11], off offset:2688
	v_fma_f64 v[175:176], v[6:7], v[0:1], v[2:3]
	global_load_b128 v[65:68], v[12:13], off offset:1184
	s_waitcnt vmcnt(6) lgkmcnt(5)
	v_mul_f64 v[0:1], v[24:25], v[20:21]
	v_mul_f64 v[2:3], v[22:23], v[20:21]
	ds_load_b128 v[69:72], v152 offset:15552
	ds_load_b128 v[73:76], v152 offset:16848
	global_load_b128 v[77:80], v[10:11], off offset:3984
	ds_load_b128 v[85:88], v152 offset:19440
	ds_load_b128 v[93:96], v152 offset:18144
	v_fma_f64 v[169:170], v[22:23], v[18:19], -v[0:1]
	s_waitcnt vmcnt(5) lgkmcnt(7)
	v_mul_f64 v[0:1], v[39:40], v[35:36]
	v_fma_f64 v[171:172], v[24:25], v[18:19], v[2:3]
	v_mul_f64 v[2:3], v[37:38], v[35:36]
	s_delay_alu instid0(VALU_DEP_3) | instskip(NEXT) | instid1(VALU_DEP_2)
	v_fma_f64 v[165:166], v[37:38], v[33:34], -v[0:1]
	v_fma_f64 v[167:168], v[39:40], v[33:34], v[2:3]
	s_waitcnt vmcnt(3) lgkmcnt(5)
	v_mul_f64 v[0:1], v[55:56], v[51:52]
	v_mul_f64 v[2:3], v[53:54], v[51:52]
	s_delay_alu instid0(VALU_DEP_2) | instskip(SKIP_2) | instid1(VALU_DEP_3)
	v_fma_f64 v[161:162], v[53:54], v[49:50], -v[0:1]
	s_waitcnt vmcnt(1) lgkmcnt(3)
	v_mul_f64 v[0:1], v[71:72], v[67:68]
	v_fma_f64 v[163:164], v[55:56], v[49:50], v[2:3]
	v_mul_f64 v[2:3], v[69:70], v[67:68]
	s_delay_alu instid0(VALU_DEP_3)
	v_fma_f64 v[157:158], v[69:70], v[65:66], -v[0:1]
	v_add_co_u32 v0, vcc_lo, 0xe000, v16
	v_add_co_ci_u32_e32 v1, vcc_lo, 0, v17, vcc_lo
	v_add_co_u32 v69, vcc_lo, 0xf000, v16
	v_add_co_ci_u32_e32 v70, vcc_lo, 0, v17, vcc_lo
	s_clause 0x3
	global_load_b128 v[81:84], v[0:1], off offset:976
	global_load_b128 v[89:92], v[0:1], off offset:2272
	;; [unrolled: 1-line block ×4, first 2 shown]
	ds_load_b128 v[105:108], v152 offset:23328
	ds_load_b128 v[109:112], v152 offset:24624
	v_fma_f64 v[159:160], v[71:72], v[65:66], v[2:3]
	ds_load_b128 v[117:120], v152 offset:27216
	ds_load_b128 v[125:128], v152 offset:25920
	s_waitcnt vmcnt(3) lgkmcnt(5)
	v_mul_f64 v[2:3], v[87:88], v[83:84]
	v_mul_f64 v[4:5], v[85:86], v[83:84]
	s_waitcnt vmcnt(0) lgkmcnt(3)
	v_mul_f64 v[0:1], v[107:108], v[103:104]
	s_delay_alu instid0(VALU_DEP_3) | instskip(SKIP_1) | instid1(VALU_DEP_3)
	v_fma_f64 v[153:154], v[85:86], v[81:82], -v[2:3]
	v_mul_f64 v[2:3], v[105:106], v[103:104]
	v_fma_f64 v[103:104], v[105:106], v[101:102], -v[0:1]
	v_add_co_u32 v0, vcc_lo, 0x10000, v16
	v_add_co_ci_u32_e32 v1, vcc_lo, 0, v17, vcc_lo
	v_fma_f64 v[155:156], v[87:88], v[81:82], v[4:5]
	v_add_co_u32 v85, vcc_lo, 0x11000, v16
	s_clause 0x1
	global_load_b128 v[113:116], v[0:1], off offset:560
	global_load_b128 v[121:124], v[0:1], off offset:1856
	v_add_co_ci_u32_e32 v86, vcc_lo, 0, v17, vcc_lo
	v_fma_f64 v[105:106], v[107:108], v[101:102], v[2:3]
	s_waitcnt vmcnt(1) lgkmcnt(1)
	v_mul_f64 v[2:3], v[119:120], v[115:116]
	v_mul_f64 v[4:5], v[117:118], v[115:116]
	s_delay_alu instid0(VALU_DEP_2) | instskip(NEXT) | instid1(VALU_DEP_2)
	v_fma_f64 v[115:116], v[117:118], v[113:114], -v[2:3]
	v_fma_f64 v[117:118], v[119:120], v[113:114], v[4:5]
	s_clause 0x1
	global_load_b128 v[129:132], v[0:1], off offset:3152
	global_load_b128 v[4:7], v[85:86], off offset:352
	ds_load_b128 v[0:3], v152 offset:31104
	ds_load_b128 v[32:35], v152 offset:32400
	;; [unrolled: 1-line block ×3, first 2 shown]
	s_waitcnt vmcnt(0) lgkmcnt(2)
	v_mul_f64 v[14:15], v[2:3], v[6:7]
	v_mul_f64 v[6:7], v[0:1], v[6:7]
	s_delay_alu instid0(VALU_DEP_2) | instskip(SKIP_2) | instid1(VALU_DEP_4)
	v_fma_f64 v[81:82], v[0:1], v[4:5], -v[14:15]
	v_add_co_u32 v0, vcc_lo, 0x12000, v16
	v_add_co_ci_u32_e32 v1, vcc_lo, 0, v17, vcc_lo
	v_fma_f64 v[83:84], v[2:3], v[4:5], v[6:7]
	v_dual_mov_b32 v14, v16 :: v_dual_mov_b32 v15, v17
	global_load_b128 v[4:7], v[0:1], off offset:144
	ds_load_b128 v[16:19], v152 offset:34992
	global_load_b128 v[28:31], v[0:1], off offset:1440
	s_waitcnt vmcnt(1) lgkmcnt(0)
	v_mul_f64 v[2:3], v[18:19], v[6:7]
	v_mul_f64 v[6:7], v[16:17], v[6:7]
	s_delay_alu instid0(VALU_DEP_2) | instskip(SKIP_1) | instid1(VALU_DEP_3)
	v_fma_f64 v[65:66], v[16:17], v[4:5], -v[2:3]
	v_mul_f64 v[2:3], v[139:140], v[143:144]
	v_fma_f64 v[67:68], v[18:19], v[4:5], v[6:7]
	v_mul_f64 v[4:5], v[137:138], v[143:144]
	s_delay_alu instid0(VALU_DEP_3) | instskip(SKIP_2) | instid1(VALU_DEP_4)
	v_fma_f64 v[53:54], v[137:138], v[141:142], -v[2:3]
	v_add_co_u32 v2, vcc_lo, 0xa000, v14
	v_add_co_ci_u32_e32 v3, vcc_lo, 0, v15, vcc_lo
	v_fma_f64 v[55:56], v[139:140], v[141:142], v[4:5]
	s_clause 0x1
	global_load_b128 v[137:140], v[2:3], off offset:3104
	global_load_b128 v[141:144], v[0:1], off offset:2736
	ds_load_b128 v[0:3], v152 offset:5184
	ds_load_b128 v[24:27], v152 offset:6480
	s_waitcnt vmcnt(1) lgkmcnt(1)
	v_mul_f64 v[4:5], v[2:3], v[139:140]
	v_mul_f64 v[6:7], v[0:1], v[139:140]
	s_delay_alu instid0(VALU_DEP_2) | instskip(NEXT) | instid1(VALU_DEP_2)
	v_fma_f64 v[49:50], v[0:1], v[137:138], -v[4:5]
	v_fma_f64 v[51:52], v[2:3], v[137:138], v[6:7]
	s_clause 0x1
	global_load_b128 v[137:140], v[8:9], off offset:2896
	global_load_b128 v[20:23], v[10:11], off offset:96
	s_waitcnt vmcnt(1)
	v_mul_f64 v[0:1], v[43:44], v[139:140]
	v_mul_f64 v[2:3], v[41:42], v[139:140]
	s_delay_alu instid0(VALU_DEP_2) | instskip(NEXT) | instid1(VALU_DEP_2)
	v_fma_f64 v[41:42], v[41:42], v[137:138], -v[0:1]
	v_fma_f64 v[43:44], v[43:44], v[137:138], v[2:3]
	ds_load_b128 v[137:140], v152 offset:12960
	ds_load_b128 v[16:19], v152 offset:14256
	s_waitcnt lgkmcnt(1)
	v_mul_f64 v[0:1], v[139:140], v[59:60]
	v_mul_f64 v[2:3], v[137:138], v[59:60]
	s_delay_alu instid0(VALU_DEP_2) | instskip(NEXT) | instid1(VALU_DEP_2)
	v_fma_f64 v[137:138], v[137:138], v[57:58], -v[0:1]
	v_fma_f64 v[139:140], v[139:140], v[57:58], v[2:3]
	s_clause 0x1
	global_load_b128 v[57:60], v[12:13], off offset:2480
	global_load_b128 v[12:15], v[12:13], off offset:3776
	s_waitcnt vmcnt(1)
	v_mul_f64 v[0:1], v[75:76], v[59:60]
	v_mul_f64 v[2:3], v[73:74], v[59:60]
	s_delay_alu instid0(VALU_DEP_2) | instskip(NEXT) | instid1(VALU_DEP_2)
	v_fma_f64 v[71:72], v[73:74], v[57:58], -v[0:1]
	v_fma_f64 v[73:74], v[75:76], v[57:58], v[2:3]
	ds_load_b128 v[57:60], v152 offset:20736
	ds_load_b128 v[8:11], v152 offset:22032
	s_waitcnt lgkmcnt(1)
	;; [unrolled: 17-line block ×4, first 2 shown]
	v_mul_f64 v[69:70], v[87:88], v[30:31]
	v_mul_f64 v[30:31], v[85:86], v[30:31]
	s_delay_alu instid0(VALU_DEP_2) | instskip(SKIP_2) | instid1(VALU_DEP_4)
	v_fma_f64 v[85:86], v[85:86], v[28:29], -v[69:70]
	v_mul_f64 v[69:70], v[26:27], v[47:48]
	v_mul_f64 v[47:48], v[24:25], v[47:48]
	v_fma_f64 v[87:88], v[87:88], v[28:29], v[30:31]
	v_mul_f64 v[28:29], v[135:136], v[147:148]
	v_mul_f64 v[30:31], v[133:134], v[147:148]
	v_fma_f64 v[24:25], v[24:25], v[45:46], -v[69:70]
	v_fma_f64 v[26:27], v[26:27], v[45:46], v[47:48]
	v_mul_f64 v[45:46], v[63:64], v[22:23]
	v_mul_f64 v[22:23], v[61:62], v[22:23]
	v_fma_f64 v[28:29], v[133:134], v[145:146], -v[28:29]
	v_fma_f64 v[30:31], v[135:136], v[145:146], v[30:31]
	s_delay_alu instid0(VALU_DEP_4) | instskip(NEXT) | instid1(VALU_DEP_4)
	v_fma_f64 v[45:46], v[61:62], v[20:21], -v[45:46]
	v_fma_f64 v[47:48], v[63:64], v[20:21], v[22:23]
	v_mul_f64 v[20:21], v[18:19], v[79:80]
	v_mul_f64 v[22:23], v[16:17], v[79:80]
	s_waitcnt vmcnt(0)
	v_mul_f64 v[61:62], v[38:39], v[2:3]
	v_mul_f64 v[2:3], v[36:37], v[2:3]
	s_delay_alu instid0(VALU_DEP_4)
	v_fma_f64 v[16:17], v[16:17], v[77:78], -v[20:21]
	v_mul_f64 v[20:21], v[95:96], v[14:15]
	v_mul_f64 v[14:15], v[93:94], v[14:15]
	v_fma_f64 v[18:19], v[18:19], v[77:78], v[22:23]
	v_fma_f64 v[36:37], v[36:37], v[0:1], -v[61:62]
	v_fma_f64 v[38:39], v[38:39], v[0:1], v[2:3]
	s_waitcnt lgkmcnt(0)
	v_mul_f64 v[0:1], v[121:122], v[143:144]
	v_mul_f64 v[2:3], v[119:120], v[143:144]
	v_fma_f64 v[20:21], v[93:94], v[12:13], -v[20:21]
	v_fma_f64 v[22:23], v[95:96], v[12:13], v[14:15]
	v_mul_f64 v[12:13], v[10:11], v[99:100]
	v_mul_f64 v[14:15], v[8:9], v[99:100]
	v_fma_f64 v[0:1], v[119:120], v[141:142], -v[0:1]
	v_fma_f64 v[2:3], v[121:122], v[141:142], v[2:3]
	s_delay_alu instid0(VALU_DEP_4) | instskip(SKIP_3) | instid1(VALU_DEP_3)
	v_fma_f64 v[8:9], v[8:9], v[97:98], -v[12:13]
	v_mul_f64 v[12:13], v[127:128], v[6:7]
	v_mul_f64 v[6:7], v[125:126], v[6:7]
	v_fma_f64 v[10:11], v[10:11], v[97:98], v[14:15]
	v_fma_f64 v[12:13], v[125:126], v[4:5], -v[12:13]
	s_delay_alu instid0(VALU_DEP_3) | instskip(SKIP_2) | instid1(VALU_DEP_2)
	v_fma_f64 v[14:15], v[127:128], v[4:5], v[6:7]
	v_mul_f64 v[4:5], v[113:114], v[131:132]
	v_mul_f64 v[6:7], v[111:112], v[131:132]
	v_fma_f64 v[4:5], v[111:112], v[129:130], -v[4:5]
	s_delay_alu instid0(VALU_DEP_2)
	v_fma_f64 v[6:7], v[113:114], v[129:130], v[6:7]
	ds_store_b128 v152, v[173:176]
	ds_store_b128 v152, v[169:172] offset:3888
	ds_store_b128 v152, v[165:168] offset:7776
	;; [unrolled: 1-line block ×29, first 2 shown]
	s_waitcnt lgkmcnt(0)
	s_barrier
	buffer_gl0_inv
	ds_load_b128 v[20:23], v152 offset:7776
	ds_load_b128 v[16:19], v152
	ds_load_b128 v[49:52], v152 offset:1296
	ds_load_b128 v[12:15], v152 offset:9072
	;; [unrolled: 1-line block ×4, first 2 shown]
	s_waitcnt lgkmcnt(4)
	v_add_f64 v[8:9], v[16:17], v[20:21]
	s_waitcnt lgkmcnt(1)
	v_add_f64 v[69:70], v[20:21], -v[0:1]
	v_add_f64 v[77:78], v[0:1], -v[20:21]
	;; [unrolled: 1-line block ×4, first 2 shown]
	v_add_f64 v[32:33], v[8:9], v[0:1]
	v_add_f64 v[8:9], v[18:19], v[22:23]
	s_delay_alu instid0(VALU_DEP_1)
	v_add_f64 v[34:35], v[8:9], v[2:3]
	ds_load_b128 v[24:27], v152 offset:23328
	ds_load_b128 v[8:11], v152 offset:24624
	s_waitcnt lgkmcnt(1)
	v_add_f64 v[61:62], v[0:1], v[24:25]
	v_add_f64 v[93:94], v[2:3], -v[26:27]
	v_add_f64 v[63:64], v[2:3], v[26:27]
	v_add_f64 v[95:96], v[0:1], -v[24:25]
	ds_load_b128 v[28:31], v152 offset:31104
	ds_load_b128 v[0:3], v152 offset:32400
	s_waitcnt lgkmcnt(1)
	v_add_f64 v[97:98], v[22:23], -v[30:31]
	v_add_f64 v[65:66], v[20:21], v[28:29]
	v_add_f64 v[99:100], v[20:21], -v[28:29]
	v_add_f64 v[67:68], v[22:23], v[30:31]
	v_add_f64 v[20:21], v[32:33], v[24:25]
	;; [unrolled: 1-line block ×3, first 2 shown]
	v_add_f64 v[73:74], v[28:29], -v[24:25]
	v_add_f64 v[81:82], v[24:25], -v[28:29]
	;; [unrolled: 1-line block ×4, first 2 shown]
	v_fma_f64 v[125:126], v[61:62], -0.5, v[16:17]
	v_fma_f64 v[127:128], v[63:64], -0.5, v[18:19]
	;; [unrolled: 1-line block ×4, first 2 shown]
	v_add_f64 v[85:86], v[20:21], v[28:29]
	v_add_f64 v[87:88], v[22:23], v[30:31]
	ds_load_b128 v[20:23], v152 offset:11664
	ds_load_b128 v[24:27], v152 offset:3888
	;; [unrolled: 1-line block ×8, first 2 shown]
	s_waitcnt lgkmcnt(6)
	v_add_f64 v[32:33], v[24:25], v[20:21]
	s_waitcnt lgkmcnt(3)
	v_add_f64 v[105:106], v[20:21], -v[28:29]
	s_waitcnt lgkmcnt(1)
	v_add_f64 v[109:110], v[30:31], v[55:56]
	v_add_f64 v[101:102], v[28:29], v[53:54]
	v_add_f64 v[103:104], v[30:31], -v[55:56]
	v_add_f64 v[107:108], v[28:29], -v[20:21]
	v_add_f64 v[111:112], v[28:29], -v[53:54]
	v_add_f64 v[113:114], v[22:23], -v[30:31]
	v_add_f64 v[115:116], v[30:31], -v[22:23]
	v_add_f64 v[89:90], v[32:33], v[28:29]
	v_add_f64 v[32:33], v[26:27], v[22:23]
	v_fma_f64 v[109:110], v[109:110], -0.5, v[26:27]
	v_fma_f64 v[101:102], v[101:102], -0.5, v[24:25]
	s_delay_alu instid0(VALU_DEP_4) | instskip(NEXT) | instid1(VALU_DEP_4)
	v_add_f64 v[89:90], v[89:90], v[53:54]
	v_add_f64 v[91:92], v[32:33], v[30:31]
	ds_load_b128 v[28:31], v152 offset:34992
	ds_load_b128 v[33:36], v152 offset:33696
	s_waitcnt lgkmcnt(1)
	v_add_f64 v[117:118], v[22:23], -v[30:31]
	v_add_f64 v[119:120], v[20:21], v[28:29]
	v_add_f64 v[20:21], v[20:21], -v[28:29]
	v_add_f64 v[22:23], v[22:23], v[30:31]
	v_add_f64 v[121:122], v[28:29], -v[53:54]
	v_add_f64 v[53:54], v[53:54], -v[28:29]
	;; [unrolled: 1-line block ×3, first 2 shown]
	v_add_f64 v[28:29], v[89:90], v[28:29]
	v_add_f64 v[91:92], v[91:92], v[55:56]
	v_add_f64 v[55:56], v[55:56], -v[30:31]
	v_fma_f64 v[24:25], v[119:120], -0.5, v[24:25]
	v_fma_f64 v[22:23], v[22:23], -0.5, v[26:27]
	v_add_f64 v[26:27], v[69:70], v[73:74]
	v_fma_f64 v[69:70], v[20:21], s[16:17], v[109:110]
	v_add_f64 v[53:54], v[107:108], v[53:54]
	v_add_f64 v[65:66], v[85:86], v[28:29]
	;; [unrolled: 1-line block ×3, first 2 shown]
	v_add_f64 v[61:62], v[85:86], -v[28:29]
	v_add_f64 v[28:29], v[71:72], v[75:76]
	v_fma_f64 v[71:72], v[117:118], s[18:19], v[101:102]
	v_add_f64 v[55:56], v[115:116], v[55:56]
	v_fma_f64 v[69:70], v[111:112], s[12:13], v[69:70]
	v_add_f64 v[67:68], v[87:88], v[30:31]
	v_add_f64 v[63:64], v[87:88], -v[30:31]
	v_add_f64 v[30:31], v[105:106], v[121:122]
	v_add_f64 v[105:106], v[113:114], v[123:124]
	v_fma_f64 v[71:72], v[103:104], s[14:15], v[71:72]
	s_delay_alu instid0(VALU_DEP_2) | instskip(NEXT) | instid1(VALU_DEP_2)
	v_fma_f64 v[69:70], v[105:106], s[20:21], v[69:70]
	v_fma_f64 v[71:72], v[30:31], s[20:21], v[71:72]
	s_delay_alu instid0(VALU_DEP_2) | instskip(NEXT) | instid1(VALU_DEP_1)
	v_mul_f64 v[73:74], v[69:70], s[14:15]
	v_fma_f64 v[73:74], v[71:72], s[22:23], v[73:74]
	v_mul_f64 v[71:72], v[71:72], s[12:13]
	s_delay_alu instid0(VALU_DEP_1) | instskip(SKIP_2) | instid1(VALU_DEP_2)
	v_fma_f64 v[75:76], v[69:70], s[22:23], v[71:72]
	v_fma_f64 v[69:70], v[97:98], s[18:19], v[125:126]
	;; [unrolled: 1-line block ×4, first 2 shown]
	s_delay_alu instid0(VALU_DEP_2) | instskip(NEXT) | instid1(VALU_DEP_2)
	v_fma_f64 v[71:72], v[95:96], s[12:13], v[71:72]
	v_fma_f64 v[85:86], v[26:27], s[20:21], v[69:70]
	s_delay_alu instid0(VALU_DEP_2) | instskip(NEXT) | instid1(VALU_DEP_2)
	v_fma_f64 v[87:88], v[28:29], s[20:21], v[71:72]
	v_add_f64 v[69:70], v[85:86], v[73:74]
	v_add_f64 v[73:74], v[85:86], -v[73:74]
	v_add_f64 v[85:86], v[77:78], v[81:82]
	v_fma_f64 v[77:78], v[111:112], s[18:19], v[22:23]
	v_add_f64 v[71:72], v[87:88], v[75:76]
	v_add_f64 v[75:76], v[87:88], -v[75:76]
	v_add_f64 v[87:88], v[79:80], v[83:84]
	v_fma_f64 v[79:80], v[103:104], s[16:17], v[24:25]
	v_fma_f64 v[22:23], v[111:112], s[16:17], v[22:23]
	;; [unrolled: 1-line block ×4, first 2 shown]
	s_delay_alu instid0(VALU_DEP_4) | instskip(NEXT) | instid1(VALU_DEP_4)
	v_fma_f64 v[79:80], v[117:118], s[14:15], v[79:80]
	v_fma_f64 v[22:23], v[20:21], s[14:15], v[22:23]
	s_delay_alu instid0(VALU_DEP_4) | instskip(NEXT) | instid1(VALU_DEP_4)
	v_fma_f64 v[24:25], v[117:118], s[12:13], v[24:25]
	v_fma_f64 v[77:78], v[55:56], s[20:21], v[77:78]
	;; [unrolled: 3-line block ×3, first 2 shown]
	s_delay_alu instid0(VALU_DEP_4) | instskip(NEXT) | instid1(VALU_DEP_4)
	v_fma_f64 v[24:25], v[53:54], s[20:21], v[24:25]
	v_mul_f64 v[81:82], v[77:78], s[18:19]
	v_mul_f64 v[77:78], v[77:78], s[20:21]
	s_delay_alu instid0(VALU_DEP_4) | instskip(SKIP_1) | instid1(VALU_DEP_4)
	v_mul_f64 v[53:54], v[22:23], s[18:19]
	v_mul_f64 v[22:23], v[22:23], s[24:25]
	v_fma_f64 v[81:82], v[79:80], s[20:21], v[81:82]
	s_delay_alu instid0(VALU_DEP_4)
	v_fma_f64 v[83:84], v[79:80], s[16:17], v[77:78]
	v_fma_f64 v[77:78], v[93:94], s[16:17], v[16:17]
	;; [unrolled: 1-line block ×11, first 2 shown]
	s_delay_alu instid0(VALU_DEP_4) | instskip(NEXT) | instid1(VALU_DEP_4)
	v_fma_f64 v[89:90], v[85:86], s[20:21], v[77:78]
	v_fma_f64 v[16:17], v[85:86], s[20:21], v[16:17]
	s_delay_alu instid0(VALU_DEP_4) | instskip(NEXT) | instid1(VALU_DEP_4)
	v_fma_f64 v[91:92], v[87:88], s[20:21], v[79:80]
	v_fma_f64 v[18:19], v[87:88], s[20:21], v[18:19]
	s_delay_alu instid0(VALU_DEP_4)
	v_add_f64 v[77:78], v[89:90], v[81:82]
	v_add_f64 v[81:82], v[89:90], -v[81:82]
	v_add_f64 v[85:86], v[16:17], v[53:54]
	v_add_f64 v[89:90], v[16:17], -v[53:54]
	v_fma_f64 v[16:17], v[20:21], s[18:19], v[109:110]
	v_add_f64 v[79:80], v[91:92], v[83:84]
	v_add_f64 v[83:84], v[91:92], -v[83:84]
	v_add_f64 v[87:88], v[18:19], v[22:23]
	v_add_f64 v[91:92], v[18:19], -v[22:23]
	v_fma_f64 v[22:23], v[117:118], s[16:17], v[101:102]
	v_fma_f64 v[18:19], v[97:98], s[16:17], v[125:126]
	;; [unrolled: 1-line block ×4, first 2 shown]
	s_delay_alu instid0(VALU_DEP_4) | instskip(NEXT) | instid1(VALU_DEP_4)
	v_fma_f64 v[22:23], v[103:104], s[12:13], v[22:23]
	v_fma_f64 v[18:19], v[93:94], s[12:13], v[18:19]
	s_delay_alu instid0(VALU_DEP_4) | instskip(NEXT) | instid1(VALU_DEP_4)
	v_fma_f64 v[20:21], v[95:96], s[14:15], v[20:21]
	v_fma_f64 v[16:17], v[105:106], s[20:21], v[16:17]
	;; [unrolled: 3-line block ×3, first 2 shown]
	s_delay_alu instid0(VALU_DEP_4) | instskip(NEXT) | instid1(VALU_DEP_4)
	v_fma_f64 v[20:21], v[28:29], s[20:21], v[20:21]
	v_mul_f64 v[24:25], v[16:17], s[14:15]
	v_mul_f64 v[16:17], v[16:17], s[26:27]
	s_delay_alu instid0(VALU_DEP_2) | instskip(NEXT) | instid1(VALU_DEP_2)
	v_fma_f64 v[24:25], v[22:23], s[26:27], v[24:25]
	v_fma_f64 v[16:17], v[22:23], s[12:13], v[16:17]
	s_delay_alu instid0(VALU_DEP_2) | instskip(NEXT) | instid1(VALU_DEP_2)
	v_add_f64 v[93:94], v[18:19], v[24:25]
	v_add_f64 v[95:96], v[20:21], v[16:17]
	v_add_f64 v[97:98], v[18:19], -v[24:25]
	v_add_f64 v[99:100], v[20:21], -v[16:17]
	ds_load_b128 v[101:104], v152 offset:5184
	ds_load_b128 v[53:56], v152 offset:6480
	;; [unrolled: 1-line block ×10, first 2 shown]
	s_waitcnt lgkmcnt(0)
	s_barrier
	buffer_gl0_inv
	scratch_load_b32 v32, off, off offset:508 ; 4-byte Folded Reload
	s_waitcnt vmcnt(0)
	ds_store_b128 v32, v[65:68]
	ds_store_b128 v32, v[61:64] offset:80
	ds_store_b128 v32, v[69:72] offset:16
	;; [unrolled: 1-line block ×9, first 2 shown]
	v_add_f64 v[61:62], v[49:50], v[12:13]
	v_add_f64 v[63:64], v[51:52], v[14:15]
	v_add_f64 v[65:66], v[4:5], v[8:9]
	v_add_f64 v[67:68], v[12:13], -v[4:5]
	v_add_f64 v[69:70], v[4:5], -v[12:13]
	;; [unrolled: 1-line block ×5, first 2 shown]
	v_add_f64 v[71:72], v[6:7], v[10:11]
	v_add_f64 v[77:78], v[14:15], -v[6:7]
	v_add_f64 v[79:80], v[6:7], -v[14:15]
	;; [unrolled: 1-line block ×4, first 2 shown]
	v_add_f64 v[93:94], v[111:112], v[115:116]
	v_add_f64 v[87:88], v[111:112], -v[115:116]
	v_add_f64 v[89:90], v[105:106], -v[109:110]
	;; [unrolled: 1-line block ×8, first 2 shown]
	scratch_load_b32 v32, off, off offset:1404 ; 4-byte Folded Reload
	v_add_f64 v[61:62], v[61:62], v[4:5]
	v_add_f64 v[63:64], v[63:64], v[6:7]
	;; [unrolled: 1-line block ×4, first 2 shown]
	v_fma_f64 v[125:126], v[65:66], -0.5, v[49:50]
	v_fma_f64 v[127:128], v[71:72], -0.5, v[51:52]
	;; [unrolled: 1-line block ×3, first 2 shown]
	v_add_f64 v[89:90], v[89:90], v[121:122]
	v_add_f64 v[97:98], v[97:98], v[123:124]
	v_add_f64 v[12:13], v[61:62], v[8:9]
	v_add_f64 v[14:15], v[63:64], v[10:11]
	v_add_f64 v[61:62], v[0:1], -v[8:9]
	v_add_f64 v[63:64], v[8:9], -v[0:1]
	;; [unrolled: 1-line block ×3, first 2 shown]
	v_fma_f64 v[65:66], v[4:5], -0.5, v[49:50]
	v_fma_f64 v[71:72], v[6:7], -0.5, v[51:52]
	v_add_f64 v[10:11], v[12:13], v[0:1]
	v_add_f64 v[0:1], v[101:102], v[105:106]
	;; [unrolled: 1-line block ×7, first 2 shown]
	v_add_f64 v[109:110], v[107:108], -v[119:120]
	v_add_f64 v[2:3], v[2:3], v[111:112]
	v_add_f64 v[111:112], v[105:106], v[117:118]
	v_add_f64 v[105:106], v[105:106], -v[117:118]
	v_fma_f64 v[129:130], v[14:15], -0.5, v[101:102]
	v_add_f64 v[107:108], v[107:108], v[119:120]
	v_add_f64 v[0:1], v[0:1], v[113:114]
	v_add_f64 v[113:114], v[113:114], -v[117:118]
	v_add_f64 v[2:3], v[2:3], v[115:116]
	v_add_f64 v[115:116], v[115:116], -v[119:120]
	v_fma_f64 v[8:9], v[105:106], s[16:17], v[93:94]
	v_fma_f64 v[101:102], v[111:112], -0.5, v[101:102]
	v_fma_f64 v[103:104], v[107:108], -0.5, v[103:104]
	v_add_f64 v[107:108], v[67:68], v[61:62]
	v_add_f64 v[67:68], v[69:70], v[63:64]
	;; [unrolled: 1-line block ×7, first 2 shown]
	v_fma_f64 v[8:9], v[95:96], s[12:13], v[8:9]
	v_add_f64 v[0:1], v[10:11], v[117:118]
	v_add_f64 v[4:5], v[10:11], -v[117:118]
	v_fma_f64 v[10:11], v[109:110], s[18:19], v[129:130]
	v_add_f64 v[2:3], v[12:13], v[119:120]
	v_fma_f64 v[8:9], v[97:98], s[20:21], v[8:9]
	v_add_f64 v[6:7], v[12:13], -v[119:120]
	s_delay_alu instid0(VALU_DEP_4) | instskip(NEXT) | instid1(VALU_DEP_3)
	v_fma_f64 v[10:11], v[87:88], s[14:15], v[10:11]
	v_mul_f64 v[12:13], v[8:9], s[14:15]
	s_delay_alu instid0(VALU_DEP_2) | instskip(NEXT) | instid1(VALU_DEP_1)
	v_fma_f64 v[10:11], v[89:90], s[20:21], v[10:11]
	v_fma_f64 v[12:13], v[10:11], s[22:23], v[12:13]
	v_mul_f64 v[10:11], v[10:11], s[12:13]
	s_delay_alu instid0(VALU_DEP_1) | instskip(SKIP_2) | instid1(VALU_DEP_2)
	v_fma_f64 v[14:15], v[8:9], s[22:23], v[10:11]
	v_fma_f64 v[8:9], v[81:82], s[18:19], v[125:126]
	;; [unrolled: 1-line block ×4, first 2 shown]
	s_delay_alu instid0(VALU_DEP_2) | instskip(NEXT) | instid1(VALU_DEP_2)
	v_fma_f64 v[10:11], v[75:76], s[12:13], v[10:11]
	v_fma_f64 v[49:50], v[107:108], s[20:21], v[8:9]
	s_delay_alu instid0(VALU_DEP_2) | instskip(NEXT) | instid1(VALU_DEP_2)
	v_fma_f64 v[51:52], v[77:78], s[20:21], v[10:11]
	v_add_f64 v[8:9], v[49:50], v[12:13]
	v_add_f64 v[12:13], v[49:50], -v[12:13]
	v_fma_f64 v[49:50], v[95:96], s[18:19], v[103:104]
	s_delay_alu instid0(VALU_DEP_4) | instskip(SKIP_2) | instid1(VALU_DEP_4)
	v_add_f64 v[10:11], v[51:52], v[14:15]
	v_add_f64 v[14:15], v[51:52], -v[14:15]
	v_fma_f64 v[51:52], v[87:88], s[16:17], v[101:102]
	v_fma_f64 v[49:50], v[105:106], s[12:13], v[49:50]
	s_delay_alu instid0(VALU_DEP_2) | instskip(NEXT) | instid1(VALU_DEP_2)
	v_fma_f64 v[51:52], v[109:110], s[14:15], v[51:52]
	v_fma_f64 v[49:50], v[85:86], s[20:21], v[49:50]
	s_delay_alu instid0(VALU_DEP_2) | instskip(NEXT) | instid1(VALU_DEP_2)
	v_fma_f64 v[51:52], v[79:80], s[20:21], v[51:52]
	v_mul_f64 v[61:62], v[49:50], s[18:19]
	v_mul_f64 v[49:50], v[49:50], s[20:21]
	s_delay_alu instid0(VALU_DEP_2) | instskip(NEXT) | instid1(VALU_DEP_2)
	v_fma_f64 v[61:62], v[51:52], s[20:21], v[61:62]
	v_fma_f64 v[63:64], v[51:52], s[16:17], v[49:50]
	;; [unrolled: 1-line block ×5, first 2 shown]
	s_delay_alu instid0(VALU_DEP_3) | instskip(NEXT) | instid1(VALU_DEP_3)
	v_fma_f64 v[49:50], v[81:82], s[14:15], v[49:50]
	v_fma_f64 v[65:66], v[81:82], s[12:13], v[65:66]
	s_delay_alu instid0(VALU_DEP_3) | instskip(SKIP_1) | instid1(VALU_DEP_4)
	v_fma_f64 v[51:52], v[83:84], s[12:13], v[51:52]
	v_fma_f64 v[81:82], v[81:82], s[16:17], v[125:126]
	;; [unrolled: 1-line block ×3, first 2 shown]
	s_delay_alu instid0(VALU_DEP_3) | instskip(NEXT) | instid1(VALU_DEP_3)
	v_fma_f64 v[99:100], v[69:70], s[20:21], v[51:52]
	v_fma_f64 v[73:74], v[73:74], s[12:13], v[81:82]
	s_delay_alu instid0(VALU_DEP_3)
	v_add_f64 v[49:50], v[91:92], v[61:62]
	v_add_f64 v[61:62], v[91:92], -v[61:62]
	v_fma_f64 v[91:92], v[67:68], s[20:21], v[65:66]
	v_fma_f64 v[65:66], v[75:76], s[16:17], v[71:72]
	;; [unrolled: 1-line block ×3, first 2 shown]
	v_add_f64 v[51:52], v[99:100], v[63:64]
	v_add_f64 v[63:64], v[99:100], -v[63:64]
	s_delay_alu instid0(VALU_DEP_4) | instskip(NEXT) | instid1(VALU_DEP_4)
	v_fma_f64 v[65:66], v[83:84], s[14:15], v[65:66]
	v_fma_f64 v[67:68], v[109:110], s[12:13], v[67:68]
	;; [unrolled: 1-line block ×3, first 2 shown]
	s_delay_alu instid0(VALU_DEP_3) | instskip(SKIP_1) | instid1(VALU_DEP_4)
	v_fma_f64 v[71:72], v[69:70], s[20:21], v[65:66]
	v_fma_f64 v[65:66], v[95:96], s[16:17], v[103:104]
	;; [unrolled: 1-line block ×3, first 2 shown]
	s_delay_alu instid0(VALU_DEP_4) | instskip(SKIP_1) | instid1(VALU_DEP_4)
	v_fma_f64 v[75:76], v[75:76], s[14:15], v[83:84]
	v_fma_f64 v[83:84], v[107:108], s[20:21], v[73:74]
	;; [unrolled: 1-line block ×3, first 2 shown]
	s_delay_alu instid0(VALU_DEP_1) | instskip(SKIP_1) | instid1(VALU_DEP_2)
	v_fma_f64 v[65:66], v[85:86], s[20:21], v[65:66]
	v_fma_f64 v[85:86], v[109:110], s[16:17], v[129:130]
	v_mul_f64 v[69:70], v[65:66], s[18:19]
	v_mul_f64 v[65:66], v[65:66], s[24:25]
	s_delay_alu instid0(VALU_DEP_3) | instskip(SKIP_1) | instid1(VALU_DEP_4)
	v_fma_f64 v[81:82], v[87:88], s[12:13], v[85:86]
	v_fma_f64 v[85:86], v[77:78], s[20:21], v[75:76]
	;; [unrolled: 1-line block ×3, first 2 shown]
	s_delay_alu instid0(VALU_DEP_4) | instskip(NEXT) | instid1(VALU_DEP_4)
	v_fma_f64 v[79:80], v[67:68], s[16:17], v[65:66]
	v_fma_f64 v[73:74], v[89:90], s[20:21], v[81:82]
	s_delay_alu instid0(VALU_DEP_3) | instskip(NEXT) | instid1(VALU_DEP_3)
	v_add_f64 v[65:66], v[91:92], v[69:70]
	v_add_f64 v[67:68], v[71:72], v[79:80]
	v_add_f64 v[71:72], v[71:72], -v[79:80]
	v_fma_f64 v[79:80], v[105:106], s[18:19], v[93:94]
	v_add_f64 v[69:70], v[91:92], -v[69:70]
	s_delay_alu instid0(VALU_DEP_2) | instskip(NEXT) | instid1(VALU_DEP_1)
	v_fma_f64 v[79:80], v[95:96], s[14:15], v[79:80]
	v_fma_f64 v[79:80], v[97:98], s[20:21], v[79:80]
	s_delay_alu instid0(VALU_DEP_1) | instskip(SKIP_1) | instid1(VALU_DEP_2)
	v_mul_f64 v[75:76], v[79:80], s[14:15]
	v_mul_f64 v[77:78], v[79:80], s[26:27]
	v_fma_f64 v[79:80], v[73:74], s[26:27], v[75:76]
	s_delay_alu instid0(VALU_DEP_2) | instskip(NEXT) | instid1(VALU_DEP_2)
	v_fma_f64 v[81:82], v[73:74], s[12:13], v[77:78]
	v_add_f64 v[73:74], v[83:84], v[79:80]
	s_delay_alu instid0(VALU_DEP_2)
	v_add_f64 v[75:76], v[85:86], v[81:82]
	v_add_f64 v[77:78], v[83:84], -v[79:80]
	v_add_f64 v[79:80], v[85:86], -v[81:82]
	s_waitcnt vmcnt(0)
	ds_store_b128 v32, v[0:3]
	ds_store_b128 v32, v[8:11] offset:16
	ds_store_b128 v32, v[49:52] offset:32
	;; [unrolled: 1-line block ×9, first 2 shown]
	v_add_f64 v[0:1], v[57:58], v[45:46]
	v_add_f64 v[2:3], v[59:60], v[47:48]
	;; [unrolled: 1-line block ×3, first 2 shown]
	v_add_f64 v[49:50], v[39:40], -v[43:44]
	v_add_f64 v[8:9], v[45:46], -v[37:38]
	;; [unrolled: 1-line block ×3, first 2 shown]
	v_add_f64 v[6:7], v[39:40], v[43:44]
	v_add_f64 v[10:11], v[47:48], -v[39:40]
	v_add_f64 v[61:62], v[47:48], -v[35:36]
	v_add_f64 v[12:13], v[45:46], v[33:34]
	v_add_f64 v[45:46], v[45:46], -v[33:34]
	v_add_f64 v[14:15], v[47:48], v[35:36]
	;; [unrolled: 2-line block ×3, first 2 shown]
	v_add_f64 v[65:66], v[16:17], v[24:25]
	v_add_f64 v[67:68], v[18:19], -v[26:27]
	v_add_f64 v[69:70], v[20:21], -v[16:17]
	;; [unrolled: 1-line block ×5, first 2 shown]
	v_add_f64 v[79:80], v[20:21], v[28:29]
	v_add_f64 v[81:82], v[20:21], -v[28:29]
	v_add_f64 v[83:84], v[30:31], -v[26:27]
	v_add_f64 v[0:1], v[0:1], v[37:38]
	v_add_f64 v[2:3], v[2:3], v[39:40]
	v_add_f64 v[37:38], v[37:38], -v[41:42]
	v_add_f64 v[39:40], v[39:40], -v[47:48]
	;; [unrolled: 1-line block ×3, first 2 shown]
	v_fma_f64 v[85:86], v[4:5], -0.5, v[57:58]
	v_fma_f64 v[87:88], v[6:7], -0.5, v[59:60]
	;; [unrolled: 1-line block ×6, first 2 shown]
	v_add_f64 v[0:1], v[0:1], v[41:42]
	v_add_f64 v[2:3], v[2:3], v[43:44]
	v_add_f64 v[41:42], v[41:42], -v[33:34]
	v_add_f64 v[43:44], v[43:44], -v[35:36]
	s_delay_alu instid0(VALU_DEP_4)
	v_add_f64 v[32:33], v[0:1], v[33:34]
	v_add_f64 v[0:1], v[53:54], v[20:21]
	;; [unrolled: 1-line block ×5, first 2 shown]
	v_fma_f64 v[53:54], v[79:80], -0.5, v[53:54]
	v_add_f64 v[0:1], v[0:1], v[16:17]
	v_add_f64 v[16:17], v[22:23], -v[18:19]
	v_add_f64 v[2:3], v[2:3], v[18:19]
	v_add_f64 v[18:19], v[18:19], -v[22:23]
	v_add_f64 v[22:23], v[28:29], -v[24:25]
	v_fma_f64 v[55:56], v[20:21], -0.5, v[55:56]
	v_add_f64 v[0:1], v[0:1], v[24:25]
	v_add_f64 v[24:25], v[24:25], -v[28:29]
	v_add_f64 v[2:3], v[2:3], v[26:27]
	v_add_f64 v[26:27], v[26:27], -v[30:31]
	s_delay_alu instid0(VALU_DEP_4) | instskip(NEXT) | instid1(VALU_DEP_4)
	v_add_f64 v[28:29], v[0:1], v[28:29]
	v_add_f64 v[24:25], v[71:72], v[24:25]
	s_delay_alu instid0(VALU_DEP_4) | instskip(NEXT) | instid1(VALU_DEP_4)
	v_add_f64 v[30:31], v[2:3], v[30:31]
	v_add_f64 v[26:27], v[18:19], v[26:27]
	v_fma_f64 v[18:19], v[67:68], s[16:17], v[53:54]
	v_add_f64 v[0:1], v[32:33], v[28:29]
	v_add_f64 v[4:5], v[32:33], -v[28:29]
	v_add_f64 v[32:33], v[8:9], v[47:48]
	v_fma_f64 v[8:9], v[81:82], s[16:17], v[73:74]
	v_add_f64 v[2:3], v[34:35], v[30:31]
	v_add_f64 v[6:7], v[34:35], -v[30:31]
	v_add_f64 v[34:35], v[10:11], v[63:64]
	v_add_f64 v[63:64], v[16:17], v[83:84]
	v_fma_f64 v[10:11], v[77:78], s[18:19], v[65:66]
	v_add_f64 v[47:48], v[69:70], v[22:23]
	v_fma_f64 v[18:19], v[77:78], s[14:15], v[18:19]
	v_add_f64 v[28:29], v[51:52], v[41:42]
	v_add_f64 v[30:31], v[39:40], v[43:44]
	v_fma_f64 v[43:44], v[45:46], s[18:19], v[87:88]
	v_fma_f64 v[8:9], v[75:76], s[12:13], v[8:9]
	v_fma_f64 v[10:11], v[67:68], s[14:15], v[10:11]
	v_fma_f64 v[18:19], v[24:25], s[20:21], v[18:19]
	s_delay_alu instid0(VALU_DEP_3) | instskip(NEXT) | instid1(VALU_DEP_3)
	v_fma_f64 v[8:9], v[63:64], s[20:21], v[8:9]
	v_fma_f64 v[10:11], v[47:48], s[20:21], v[10:11]
	s_delay_alu instid0(VALU_DEP_2) | instskip(NEXT) | instid1(VALU_DEP_1)
	v_mul_f64 v[12:13], v[8:9], s[14:15]
	v_fma_f64 v[12:13], v[10:11], s[22:23], v[12:13]
	v_mul_f64 v[10:11], v[10:11], s[12:13]
	s_delay_alu instid0(VALU_DEP_1) | instskip(SKIP_2) | instid1(VALU_DEP_2)
	v_fma_f64 v[14:15], v[8:9], s[22:23], v[10:11]
	v_fma_f64 v[8:9], v[61:62], s[18:19], v[85:86]
	v_fma_f64 v[10:11], v[45:46], s[16:17], v[87:88]
	v_fma_f64 v[8:9], v[49:50], s[14:15], v[8:9]
	s_delay_alu instid0(VALU_DEP_2) | instskip(NEXT) | instid1(VALU_DEP_2)
	v_fma_f64 v[10:11], v[37:38], s[12:13], v[10:11]
	v_fma_f64 v[16:17], v[32:33], s[20:21], v[8:9]
	s_delay_alu instid0(VALU_DEP_2) | instskip(NEXT) | instid1(VALU_DEP_2)
	v_fma_f64 v[20:21], v[34:35], s[20:21], v[10:11]
	v_add_f64 v[8:9], v[16:17], v[12:13]
	v_add_f64 v[12:13], v[16:17], -v[12:13]
	v_fma_f64 v[16:17], v[75:76], s[18:19], v[55:56]
	s_delay_alu instid0(VALU_DEP_4) | instskip(SKIP_1) | instid1(VALU_DEP_3)
	v_add_f64 v[10:11], v[20:21], v[14:15]
	v_add_f64 v[14:15], v[20:21], -v[14:15]
	v_fma_f64 v[16:17], v[81:82], s[12:13], v[16:17]
	s_delay_alu instid0(VALU_DEP_1) | instskip(NEXT) | instid1(VALU_DEP_1)
	v_fma_f64 v[16:17], v[26:27], s[20:21], v[16:17]
	v_mul_f64 v[20:21], v[16:17], s[18:19]
	v_mul_f64 v[16:17], v[16:17], s[20:21]
	s_delay_alu instid0(VALU_DEP_2) | instskip(NEXT) | instid1(VALU_DEP_2)
	v_fma_f64 v[20:21], v[18:19], s[20:21], v[20:21]
	v_fma_f64 v[22:23], v[18:19], s[16:17], v[16:17]
	;; [unrolled: 1-line block ×4, first 2 shown]
	s_delay_alu instid0(VALU_DEP_2) | instskip(NEXT) | instid1(VALU_DEP_2)
	v_fma_f64 v[16:17], v[61:62], s[14:15], v[16:17]
	v_fma_f64 v[18:19], v[45:46], s[12:13], v[18:19]
	s_delay_alu instid0(VALU_DEP_2) | instskip(NEXT) | instid1(VALU_DEP_2)
	v_fma_f64 v[39:40], v[28:29], s[20:21], v[16:17]
	v_fma_f64 v[41:42], v[30:31], s[20:21], v[18:19]
	s_delay_alu instid0(VALU_DEP_2) | instskip(SKIP_2) | instid1(VALU_DEP_4)
	v_add_f64 v[16:17], v[39:40], v[20:21]
	v_add_f64 v[20:21], v[39:40], -v[20:21]
	v_fma_f64 v[39:40], v[49:50], s[18:19], v[57:58]
	v_add_f64 v[18:19], v[41:42], v[22:23]
	v_add_f64 v[22:23], v[41:42], -v[22:23]
	s_delay_alu instid0(VALU_DEP_3) | instskip(NEXT) | instid1(VALU_DEP_1)
	v_fma_f64 v[39:40], v[61:62], s[12:13], v[39:40]
	v_fma_f64 v[28:29], v[28:29], s[20:21], v[39:40]
	;; [unrolled: 1-line block ×4, first 2 shown]
	s_delay_alu instid0(VALU_DEP_2) | instskip(SKIP_1) | instid1(VALU_DEP_2)
	v_fma_f64 v[39:40], v[45:46], s[14:15], v[39:40]
	v_fma_f64 v[45:46], v[77:78], s[16:17], v[65:66]
	;; [unrolled: 1-line block ×4, first 2 shown]
	s_delay_alu instid0(VALU_DEP_3) | instskip(SKIP_1) | instid1(VALU_DEP_3)
	v_fma_f64 v[43:44], v[67:68], s[12:13], v[45:46]
	v_fma_f64 v[45:46], v[34:35], s[20:21], v[36:37]
	;; [unrolled: 1-line block ×3, first 2 shown]
	s_delay_alu instid0(VALU_DEP_1) | instskip(SKIP_1) | instid1(VALU_DEP_1)
	v_fma_f64 v[26:27], v[26:27], s[20:21], v[39:40]
	v_fma_f64 v[39:40], v[67:68], s[18:19], v[53:54]
	;; [unrolled: 1-line block ×3, first 2 shown]
	s_delay_alu instid0(VALU_DEP_1) | instskip(NEXT) | instid1(VALU_DEP_4)
	v_fma_f64 v[24:25], v[24:25], s[20:21], v[39:40]
	v_mul_f64 v[39:40], v[26:27], s[18:19]
	v_mul_f64 v[26:27], v[26:27], s[24:25]
	s_delay_alu instid0(VALU_DEP_2) | instskip(NEXT) | instid1(VALU_DEP_2)
	v_fma_f64 v[39:40], v[24:25], s[24:25], v[39:40]
	v_fma_f64 v[41:42], v[24:25], s[16:17], v[26:27]
	s_delay_alu instid0(VALU_DEP_2) | instskip(SKIP_2) | instid1(VALU_DEP_4)
	v_add_f64 v[24:25], v[28:29], v[39:40]
	v_add_f64 v[28:29], v[28:29], -v[39:40]
	v_fma_f64 v[39:40], v[81:82], s[18:19], v[73:74]
	v_add_f64 v[26:27], v[30:31], v[41:42]
	v_add_f64 v[30:31], v[30:31], -v[41:42]
	v_fma_f64 v[41:42], v[61:62], s[16:17], v[85:86]
	s_delay_alu instid0(VALU_DEP_4) | instskip(NEXT) | instid1(VALU_DEP_2)
	v_fma_f64 v[39:40], v[75:76], s[14:15], v[39:40]
	v_fma_f64 v[41:42], v[49:50], s[12:13], v[41:42]
	s_delay_alu instid0(VALU_DEP_2) | instskip(NEXT) | instid1(VALU_DEP_2)
	v_fma_f64 v[38:39], v[63:64], s[20:21], v[39:40]
	v_fma_f64 v[40:41], v[32:33], s[20:21], v[41:42]
	;; [unrolled: 1-line block ×3, first 2 shown]
	s_delay_alu instid0(VALU_DEP_3) | instskip(SKIP_1) | instid1(VALU_DEP_2)
	v_mul_f64 v[34:35], v[38:39], s[14:15]
	v_mul_f64 v[36:37], v[38:39], s[26:27]
	v_fma_f64 v[38:39], v[32:33], s[26:27], v[34:35]
	s_delay_alu instid0(VALU_DEP_2) | instskip(NEXT) | instid1(VALU_DEP_2)
	v_fma_f64 v[42:43], v[32:33], s[12:13], v[36:37]
	v_add_f64 v[32:33], v[40:41], v[38:39]
	v_add_f64 v[36:37], v[40:41], -v[38:39]
	scratch_load_b32 v40, off, off offset:1392 ; 4-byte Folded Reload
	v_add_f64 v[34:35], v[45:46], v[42:43]
	v_add_f64 v[38:39], v[45:46], -v[42:43]
	s_waitcnt vmcnt(0)
	ds_store_b128 v40, v[0:3]
	ds_store_b128 v40, v[8:11] offset:16
	ds_store_b128 v40, v[16:19] offset:32
	;; [unrolled: 1-line block ×9, first 2 shown]
	s_waitcnt lgkmcnt(0)
	s_barrier
	buffer_gl0_inv
	ds_load_b128 v[0:3], v152 offset:12960
	ds_load_b128 v[4:7], v152 offset:14256
	scratch_load_b128 v[10:13], off, off offset:1080 ; 16-byte Folded Reload
	s_waitcnt vmcnt(0) lgkmcnt(1)
	v_mul_f64 v[8:9], v[12:13], v[2:3]
	s_delay_alu instid0(VALU_DEP_1) | instskip(SKIP_1) | instid1(VALU_DEP_1)
	v_fma_f64 v[38:39], v[10:11], v[0:1], v[8:9]
	v_mul_f64 v[0:1], v[12:13], v[0:1]
	v_fma_f64 v[40:41], v[10:11], v[2:3], -v[0:1]
	ds_load_b128 v[0:3], v152 offset:25920
	ds_load_b128 v[8:11], v152 offset:27216
	scratch_load_b128 v[14:17], off, off offset:1048 ; 16-byte Folded Reload
	s_waitcnt vmcnt(0) lgkmcnt(1)
	v_mul_f64 v[12:13], v[16:17], v[2:3]
	s_delay_alu instid0(VALU_DEP_1) | instskip(SKIP_1) | instid1(VALU_DEP_2)
	v_fma_f64 v[42:43], v[14:15], v[0:1], v[12:13]
	v_mul_f64 v[0:1], v[16:17], v[0:1]
	v_add_f64 v[46:47], v[38:39], v[42:43]
	s_delay_alu instid0(VALU_DEP_2) | instskip(SKIP_4) | instid1(VALU_DEP_1)
	v_fma_f64 v[44:45], v[14:15], v[2:3], -v[0:1]
	scratch_load_b128 v[12:15], off, off offset:1112 ; 16-byte Folded Reload
	v_add_f64 v[48:49], v[40:41], v[44:45]
	s_waitcnt vmcnt(0)
	v_mul_f64 v[0:1], v[14:15], v[6:7]
	v_fma_f64 v[78:79], v[12:13], v[4:5], v[0:1]
	v_mul_f64 v[0:1], v[14:15], v[4:5]
	scratch_load_b128 v[2:5], off, off offset:1128 ; 16-byte Folded Reload
	v_fma_f64 v[80:81], v[12:13], v[6:7], -v[0:1]
	s_waitcnt vmcnt(0) lgkmcnt(0)
	v_mul_f64 v[0:1], v[4:5], v[10:11]
	s_delay_alu instid0(VALU_DEP_1) | instskip(SKIP_1) | instid1(VALU_DEP_1)
	v_fma_f64 v[82:83], v[2:3], v[8:9], v[0:1]
	v_mul_f64 v[0:1], v[4:5], v[8:9]
	v_fma_f64 v[84:85], v[2:3], v[10:11], -v[0:1]
	ds_load_b128 v[0:3], v152 offset:15552
	ds_load_b128 v[4:7], v152 offset:16848
	scratch_load_b128 v[10:13], off, off offset:1096 ; 16-byte Folded Reload
	s_waitcnt vmcnt(0) lgkmcnt(1)
	v_mul_f64 v[8:9], v[12:13], v[2:3]
	s_delay_alu instid0(VALU_DEP_1) | instskip(SKIP_1) | instid1(VALU_DEP_1)
	v_fma_f64 v[86:87], v[10:11], v[0:1], v[8:9]
	v_mul_f64 v[0:1], v[12:13], v[0:1]
	v_fma_f64 v[88:89], v[10:11], v[2:3], -v[0:1]
	ds_load_b128 v[0:3], v152 offset:28512
	ds_load_b128 v[8:11], v152 offset:29808
	scratch_load_b128 v[14:17], off, off offset:1064 ; 16-byte Folded Reload
	s_waitcnt vmcnt(0) lgkmcnt(1)
	v_mul_f64 v[12:13], v[16:17], v[2:3]
	s_delay_alu instid0(VALU_DEP_1) | instskip(SKIP_1) | instid1(VALU_DEP_1)
	v_fma_f64 v[90:91], v[14:15], v[0:1], v[12:13]
	v_mul_f64 v[0:1], v[16:17], v[0:1]
	v_fma_f64 v[92:93], v[14:15], v[2:3], -v[0:1]
	scratch_load_b128 v[12:15], off, off offset:1736 ; 16-byte Folded Reload
	s_waitcnt vmcnt(0)
	v_mul_f64 v[0:1], v[14:15], v[6:7]
	s_delay_alu instid0(VALU_DEP_1)
	v_fma_f64 v[94:95], v[12:13], v[4:5], v[0:1]
	v_mul_f64 v[0:1], v[14:15], v[4:5]
	scratch_load_b128 v[2:5], off, off offset:1720 ; 16-byte Folded Reload
	v_fma_f64 v[96:97], v[12:13], v[6:7], -v[0:1]
	s_waitcnt vmcnt(0) lgkmcnt(0)
	v_mul_f64 v[0:1], v[4:5], v[10:11]
	s_delay_alu instid0(VALU_DEP_1) | instskip(SKIP_1) | instid1(VALU_DEP_1)
	v_fma_f64 v[98:99], v[2:3], v[8:9], v[0:1]
	v_mul_f64 v[0:1], v[4:5], v[8:9]
	v_fma_f64 v[100:101], v[2:3], v[10:11], -v[0:1]
	ds_load_b128 v[0:3], v152 offset:18144
	ds_load_b128 v[4:7], v152 offset:19440
	scratch_load_b128 v[10:13], off, off offset:1752 ; 16-byte Folded Reload
	s_waitcnt vmcnt(0) lgkmcnt(1)
	v_mul_f64 v[8:9], v[12:13], v[2:3]
	s_delay_alu instid0(VALU_DEP_1) | instskip(SKIP_1) | instid1(VALU_DEP_1)
	v_fma_f64 v[102:103], v[10:11], v[0:1], v[8:9]
	v_mul_f64 v[0:1], v[12:13], v[0:1]
	v_fma_f64 v[104:105], v[10:11], v[2:3], -v[0:1]
	ds_load_b128 v[0:3], v152 offset:31104
	ds_load_b128 v[8:11], v152 offset:32400
	scratch_load_b128 v[14:17], off, off offset:1704 ; 16-byte Folded Reload
	s_waitcnt vmcnt(0) lgkmcnt(1)
	v_mul_f64 v[12:13], v[16:17], v[2:3]
	s_delay_alu instid0(VALU_DEP_1) | instskip(SKIP_1) | instid1(VALU_DEP_1)
	v_fma_f64 v[106:107], v[14:15], v[0:1], v[12:13]
	v_mul_f64 v[0:1], v[16:17], v[0:1]
	v_fma_f64 v[108:109], v[14:15], v[2:3], -v[0:1]
	scratch_load_b128 v[12:15], off, off offset:1784 ; 16-byte Folded Reload
	s_waitcnt vmcnt(0)
	v_mul_f64 v[0:1], v[14:15], v[6:7]
	s_delay_alu instid0(VALU_DEP_1)
	;; [unrolled: 32-line block ×3, first 2 shown]
	v_fma_f64 v[12:13], v[14:15], v[4:5], v[0:1]
	v_mul_f64 v[0:1], v[16:17], v[4:5]
	scratch_load_b128 v[2:5], off, off offset:1864 ; 16-byte Folded Reload
	v_fma_f64 v[18:19], v[14:15], v[6:7], -v[0:1]
	s_waitcnt vmcnt(0) lgkmcnt(0)
	v_mul_f64 v[0:1], v[4:5], v[10:11]
	s_delay_alu instid0(VALU_DEP_1) | instskip(SKIP_1) | instid1(VALU_DEP_1)
	v_fma_f64 v[16:17], v[2:3], v[8:9], v[0:1]
	v_mul_f64 v[0:1], v[4:5], v[8:9]
	v_fma_f64 v[22:23], v[2:3], v[10:11], -v[0:1]
	ds_load_b128 v[0:3], v152 offset:23328
	ds_load_b128 v[4:7], v152 offset:24624
	scratch_load_b128 v[30:33], off, off offset:1880 ; 16-byte Folded Reload
	s_waitcnt vmcnt(0) lgkmcnt(1)
	v_mul_f64 v[8:9], v[32:33], v[2:3]
	s_delay_alu instid0(VALU_DEP_1) | instskip(SKIP_1) | instid1(VALU_DEP_1)
	v_fma_f64 v[8:9], v[30:31], v[0:1], v[8:9]
	v_mul_f64 v[0:1], v[32:33], v[0:1]
	v_fma_f64 v[10:11], v[30:31], v[2:3], -v[0:1]
	ds_load_b128 v[0:3], v152 offset:36288
	ds_load_b128 v[30:33], v152 offset:37584
	scratch_load_b128 v[34:37], off, off offset:1832 ; 16-byte Folded Reload
	s_waitcnt vmcnt(0) lgkmcnt(1)
	v_mul_f64 v[14:15], v[36:37], v[2:3]
	s_delay_alu instid0(VALU_DEP_1) | instskip(SKIP_1) | instid1(VALU_DEP_1)
	v_fma_f64 v[14:15], v[34:35], v[0:1], v[14:15]
	v_mul_f64 v[0:1], v[36:37], v[0:1]
	v_fma_f64 v[20:21], v[34:35], v[2:3], -v[0:1]
	scratch_load_b128 v[34:37], off, off offset:1896 ; 16-byte Folded Reload
	s_waitcnt vmcnt(0)
	v_mul_f64 v[0:1], v[36:37], v[6:7]
	v_mul_f64 v[2:3], v[36:37], v[4:5]
	s_delay_alu instid0(VALU_DEP_2) | instskip(NEXT) | instid1(VALU_DEP_2)
	v_fma_f64 v[0:1], v[34:35], v[4:5], v[0:1]
	v_fma_f64 v[4:5], v[34:35], v[6:7], -v[2:3]
	scratch_load_b128 v[34:37], off, off offset:1912 ; 16-byte Folded Reload
	s_waitcnt vmcnt(0) lgkmcnt(0)
	v_mul_f64 v[2:3], v[36:37], v[32:33]
	v_mul_f64 v[6:7], v[36:37], v[30:31]
	s_delay_alu instid0(VALU_DEP_2) | instskip(NEXT) | instid1(VALU_DEP_2)
	v_fma_f64 v[2:3], v[34:35], v[30:31], v[2:3]
	v_fma_f64 v[6:7], v[34:35], v[32:33], -v[6:7]
	ds_load_b128 v[30:33], v152
	ds_load_b128 v[34:37], v152 offset:1296
	s_waitcnt lgkmcnt(1)
	v_fma_f64 v[48:49], v[48:49], -0.5, v[32:33]
	v_add_f64 v[32:33], v[32:33], v[40:41]
	v_fma_f64 v[46:47], v[46:47], -0.5, v[30:31]
	v_add_f64 v[30:31], v[30:31], v[38:39]
	v_add_f64 v[40:41], v[40:41], -v[44:45]
	s_delay_alu instid0(VALU_DEP_4) | instskip(SKIP_1) | instid1(VALU_DEP_4)
	v_add_f64 v[32:33], v[32:33], v[44:45]
	v_add_f64 v[44:45], v[38:39], -v[42:43]
	v_add_f64 v[30:31], v[30:31], v[42:43]
	s_delay_alu instid0(VALU_DEP_4) | instskip(SKIP_1) | instid1(VALU_DEP_4)
	v_fma_f64 v[38:39], v[40:41], s[2:3], v[46:47]
	v_fma_f64 v[42:43], v[40:41], s[8:9], v[46:47]
	;; [unrolled: 1-line block ×4, first 2 shown]
	ds_load_b128 v[46:49], v152 offset:2592
	ds_load_b128 v[50:53], v152 offset:3888
	;; [unrolled: 1-line block ×8, first 2 shown]
	s_waitcnt lgkmcnt(0)
	s_barrier
	buffer_gl0_inv
	scratch_load_b32 v120, off, off offset:1700 ; 4-byte Folded Reload
	s_waitcnt vmcnt(0)
	ds_store_b128 v120, v[30:33]
	ds_store_b128 v120, v[38:41] offset:160
	ds_store_b128 v120, v[42:45] offset:320
	v_add_f64 v[30:31], v[78:79], v[82:83]
	v_add_f64 v[42:43], v[78:79], -v[82:83]
	s_delay_alu instid0(VALU_DEP_2) | instskip(SKIP_2) | instid1(VALU_DEP_2)
	v_fma_f64 v[38:39], v[30:31], -0.5, v[34:35]
	v_add_f64 v[30:31], v[80:81], v[84:85]
	v_add_f64 v[34:35], v[34:35], v[78:79]
	v_fma_f64 v[40:41], v[30:31], -0.5, v[36:37]
	v_add_f64 v[30:31], v[36:37], v[80:81]
	v_add_f64 v[36:37], v[80:81], -v[84:85]
	s_delay_alu instid0(VALU_DEP_2) | instskip(SKIP_1) | instid1(VALU_DEP_3)
	v_add_f64 v[32:33], v[30:31], v[84:85]
	v_add_f64 v[30:31], v[34:35], v[82:83]
	v_fma_f64 v[34:35], v[36:37], s[2:3], v[38:39]
	v_fma_f64 v[38:39], v[36:37], s[8:9], v[38:39]
	v_fma_f64 v[36:37], v[42:43], s[8:9], v[40:41]
	v_fma_f64 v[40:41], v[42:43], s[2:3], v[40:41]
	scratch_load_b32 v42, off, off offset:1696 ; 4-byte Folded Reload
	s_waitcnt vmcnt(0)
	ds_store_b128 v42, v[30:33]
	ds_store_b128 v42, v[34:37] offset:160
	ds_store_b128 v42, v[38:41] offset:320
	v_add_f64 v[30:31], v[86:87], v[90:91]
	v_add_f64 v[34:35], v[46:47], v[86:87]
	v_add_f64 v[38:39], v[88:89], -v[92:93]
	v_add_f64 v[42:43], v[86:87], -v[90:91]
	s_delay_alu instid0(VALU_DEP_4) | instskip(SKIP_1) | instid1(VALU_DEP_1)
	v_fma_f64 v[36:37], v[30:31], -0.5, v[46:47]
	v_add_f64 v[30:31], v[88:89], v[92:93]
	v_fma_f64 v[40:41], v[30:31], -0.5, v[48:49]
	v_add_f64 v[30:31], v[48:49], v[88:89]
	s_delay_alu instid0(VALU_DEP_1)
	v_add_f64 v[32:33], v[30:31], v[92:93]
	v_add_f64 v[30:31], v[34:35], v[90:91]
	v_fma_f64 v[34:35], v[38:39], s[2:3], v[36:37]
	v_fma_f64 v[38:39], v[38:39], s[8:9], v[36:37]
	v_fma_f64 v[36:37], v[42:43], s[8:9], v[40:41]
	v_fma_f64 v[40:41], v[42:43], s[2:3], v[40:41]
	scratch_load_b32 v42, off, off offset:1692 ; 4-byte Folded Reload
	s_waitcnt vmcnt(0)
	ds_store_b128 v42, v[30:33]
	ds_store_b128 v42, v[34:37] offset:160
	ds_store_b128 v42, v[38:41] offset:320
	v_add_f64 v[30:31], v[94:95], v[98:99]
	v_add_f64 v[34:35], v[50:51], v[94:95]
	v_add_f64 v[38:39], v[96:97], -v[100:101]
	v_add_f64 v[42:43], v[94:95], -v[98:99]
	s_delay_alu instid0(VALU_DEP_4) | instskip(SKIP_1) | instid1(VALU_DEP_1)
	v_fma_f64 v[36:37], v[30:31], -0.5, v[50:51]
	v_add_f64 v[30:31], v[96:97], v[100:101]
	v_fma_f64 v[40:41], v[30:31], -0.5, v[52:53]
	v_add_f64 v[30:31], v[52:53], v[96:97]
	s_delay_alu instid0(VALU_DEP_1)
	;; [unrolled: 21-line block ×4, first 2 shown]
	v_add_f64 v[32:33], v[30:31], v[114:115]
	v_add_f64 v[30:31], v[34:35], v[112:113]
	v_fma_f64 v[34:35], v[38:39], s[2:3], v[36:37]
	v_fma_f64 v[38:39], v[38:39], s[8:9], v[36:37]
	;; [unrolled: 1-line block ×4, first 2 shown]
	scratch_load_b32 v28, off, off offset:1680 ; 4-byte Folded Reload
	s_waitcnt vmcnt(0)
	ds_store_b128 v28, v[30:33]
	ds_store_b128 v28, v[34:37] offset:160
	ds_store_b128 v28, v[38:41] offset:320
	v_add_f64 v[28:29], v[24:25], v[116:117]
	v_add_f64 v[30:31], v[62:63], v[24:25]
	v_add_f64 v[34:35], v[26:27], -v[118:119]
	v_add_f64 v[24:25], v[24:25], -v[116:117]
	s_delay_alu instid0(VALU_DEP_4) | instskip(SKIP_1) | instid1(VALU_DEP_1)
	v_fma_f64 v[32:33], v[28:29], -0.5, v[62:63]
	v_add_f64 v[28:29], v[26:27], v[118:119]
	v_fma_f64 v[36:37], v[28:29], -0.5, v[64:65]
	v_add_f64 v[28:29], v[64:65], v[26:27]
	v_add_f64 v[26:27], v[30:31], v[116:117]
	v_fma_f64 v[30:31], v[34:35], s[2:3], v[32:33]
	v_fma_f64 v[34:35], v[34:35], s[8:9], v[32:33]
	;; [unrolled: 1-line block ×4, first 2 shown]
	scratch_load_b32 v24, off, off offset:1676 ; 4-byte Folded Reload
	v_add_f64 v[28:29], v[28:29], v[118:119]
	s_waitcnt vmcnt(0)
	ds_store_b128 v24, v[26:29]
	ds_store_b128 v24, v[30:33] offset:160
	ds_store_b128 v24, v[34:37] offset:320
	v_add_f64 v[24:25], v[12:13], v[16:17]
	v_add_f64 v[30:31], v[66:67], v[12:13]
	v_add_f64 v[12:13], v[12:13], -v[16:17]
	s_delay_alu instid0(VALU_DEP_3) | instskip(SKIP_1) | instid1(VALU_DEP_1)
	v_fma_f64 v[26:27], v[24:25], -0.5, v[66:67]
	v_add_f64 v[24:25], v[18:19], v[22:23]
	v_fma_f64 v[28:29], v[24:25], -0.5, v[68:69]
	v_add_f64 v[24:25], v[68:69], v[18:19]
	v_add_f64 v[18:19], v[18:19], -v[22:23]
	s_delay_alu instid0(VALU_DEP_2) | instskip(SKIP_1) | instid1(VALU_DEP_3)
	v_add_f64 v[24:25], v[24:25], v[22:23]
	v_add_f64 v[22:23], v[30:31], v[16:17]
	v_fma_f64 v[16:17], v[18:19], s[2:3], v[26:27]
	v_fma_f64 v[26:27], v[18:19], s[8:9], v[26:27]
	;; [unrolled: 1-line block ×4, first 2 shown]
	scratch_load_b32 v12, off, off offset:1672 ; 4-byte Folded Reload
	s_waitcnt vmcnt(0)
	ds_store_b128 v12, v[22:25]
	ds_store_b128 v12, v[16:19] offset:160
	ds_store_b128 v12, v[26:29] offset:320
	v_add_f64 v[12:13], v[8:9], v[14:15]
	v_add_f64 v[18:19], v[70:71], v[8:9]
	v_add_f64 v[24:25], v[10:11], -v[20:21]
	v_add_f64 v[8:9], v[8:9], -v[14:15]
	s_delay_alu instid0(VALU_DEP_4) | instskip(SKIP_1) | instid1(VALU_DEP_1)
	v_fma_f64 v[16:17], v[12:13], -0.5, v[70:71]
	v_add_f64 v[12:13], v[10:11], v[20:21]
	v_fma_f64 v[22:23], v[12:13], -0.5, v[72:73]
	v_add_f64 v[12:13], v[72:73], v[10:11]
	v_add_f64 v[10:11], v[18:19], v[14:15]
	v_fma_f64 v[14:15], v[24:25], s[2:3], v[16:17]
	v_fma_f64 v[18:19], v[24:25], s[8:9], v[16:17]
	;; [unrolled: 1-line block ×3, first 2 shown]
	v_add_f64 v[12:13], v[12:13], v[20:21]
	v_fma_f64 v[20:21], v[8:9], s[2:3], v[22:23]
	scratch_load_b32 v8, off, off offset:1668 ; 4-byte Folded Reload
	s_waitcnt vmcnt(0)
	ds_store_b128 v8, v[10:13]
	ds_store_b128 v8, v[14:17] offset:160
	ds_store_b128 v8, v[18:21] offset:320
	v_add_f64 v[10:11], v[4:5], v[6:7]
	v_add_f64 v[12:13], v[76:77], v[4:5]
	;; [unrolled: 1-line block ×3, first 2 shown]
	v_add_f64 v[16:17], v[4:5], -v[6:7]
	v_add_f64 v[8:9], v[0:1], v[2:3]
	v_fma_f64 v[10:11], v[10:11], -0.5, v[76:77]
	v_add_f64 v[6:7], v[12:13], v[6:7]
	v_add_f64 v[12:13], v[0:1], -v[2:3]
	v_add_f64 v[4:5], v[14:15], v[2:3]
	v_fma_f64 v[8:9], v[8:9], -0.5, v[74:75]
	s_delay_alu instid0(VALU_DEP_3)
	v_fma_f64 v[2:3], v[12:13], s[8:9], v[10:11]
	v_fma_f64 v[10:11], v[12:13], s[2:3], v[10:11]
	scratch_load_b32 v12, off, off offset:1664 ; 4-byte Folded Reload
	v_fma_f64 v[0:1], v[16:17], s[2:3], v[8:9]
	v_fma_f64 v[8:9], v[16:17], s[8:9], v[8:9]
	s_waitcnt vmcnt(0)
	ds_store_b128 v12, v[4:7]
	ds_store_b128 v12, v[0:3] offset:160
	ds_store_b128 v12, v[8:11] offset:320
	s_waitcnt lgkmcnt(0)
	s_barrier
	buffer_gl0_inv
	ds_load_b128 v[0:3], v152 offset:12960
	ds_load_b128 v[4:7], v152 offset:14256
	scratch_load_b128 v[10:13], off, off offset:1472 ; 16-byte Folded Reload
	s_waitcnt vmcnt(0) lgkmcnt(1)
	v_mul_f64 v[8:9], v[12:13], v[2:3]
	s_delay_alu instid0(VALU_DEP_1) | instskip(SKIP_1) | instid1(VALU_DEP_1)
	v_fma_f64 v[38:39], v[10:11], v[0:1], v[8:9]
	v_mul_f64 v[0:1], v[12:13], v[0:1]
	v_fma_f64 v[40:41], v[10:11], v[2:3], -v[0:1]
	ds_load_b128 v[0:3], v152 offset:25920
	ds_load_b128 v[8:11], v152 offset:27216
	scratch_load_b128 v[14:17], off, off offset:1440 ; 16-byte Folded Reload
	s_waitcnt vmcnt(0) lgkmcnt(1)
	v_mul_f64 v[12:13], v[16:17], v[2:3]
	s_delay_alu instid0(VALU_DEP_1) | instskip(SKIP_1) | instid1(VALU_DEP_2)
	v_fma_f64 v[42:43], v[14:15], v[0:1], v[12:13]
	v_mul_f64 v[0:1], v[16:17], v[0:1]
	v_add_f64 v[46:47], v[38:39], v[42:43]
	s_delay_alu instid0(VALU_DEP_2) | instskip(SKIP_4) | instid1(VALU_DEP_1)
	v_fma_f64 v[44:45], v[14:15], v[2:3], -v[0:1]
	scratch_load_b128 v[12:15], off, off offset:1520 ; 16-byte Folded Reload
	v_add_f64 v[48:49], v[40:41], v[44:45]
	s_waitcnt vmcnt(0)
	v_mul_f64 v[0:1], v[14:15], v[6:7]
	v_fma_f64 v[78:79], v[12:13], v[4:5], v[0:1]
	v_mul_f64 v[0:1], v[14:15], v[4:5]
	scratch_load_b128 v[2:5], off, off offset:1536 ; 16-byte Folded Reload
	v_fma_f64 v[80:81], v[12:13], v[6:7], -v[0:1]
	s_waitcnt vmcnt(0) lgkmcnt(0)
	v_mul_f64 v[0:1], v[4:5], v[10:11]
	s_delay_alu instid0(VALU_DEP_1) | instskip(SKIP_1) | instid1(VALU_DEP_1)
	v_fma_f64 v[82:83], v[2:3], v[8:9], v[0:1]
	v_mul_f64 v[0:1], v[4:5], v[8:9]
	v_fma_f64 v[84:85], v[2:3], v[10:11], -v[0:1]
	ds_load_b128 v[0:3], v152 offset:15552
	ds_load_b128 v[4:7], v152 offset:16848
	scratch_load_b128 v[10:13], off, off offset:1488 ; 16-byte Folded Reload
	s_waitcnt vmcnt(0) lgkmcnt(1)
	v_mul_f64 v[8:9], v[12:13], v[2:3]
	s_delay_alu instid0(VALU_DEP_1) | instskip(SKIP_1) | instid1(VALU_DEP_1)
	v_fma_f64 v[86:87], v[10:11], v[0:1], v[8:9]
	v_mul_f64 v[0:1], v[12:13], v[0:1]
	v_fma_f64 v[88:89], v[10:11], v[2:3], -v[0:1]
	ds_load_b128 v[0:3], v152 offset:28512
	ds_load_b128 v[8:11], v152 offset:29808
	scratch_load_b128 v[14:17], off, off offset:1456 ; 16-byte Folded Reload
	s_waitcnt vmcnt(0) lgkmcnt(1)
	v_mul_f64 v[12:13], v[16:17], v[2:3]
	s_delay_alu instid0(VALU_DEP_1) | instskip(SKIP_1) | instid1(VALU_DEP_1)
	v_fma_f64 v[90:91], v[14:15], v[0:1], v[12:13]
	v_mul_f64 v[0:1], v[16:17], v[0:1]
	v_fma_f64 v[92:93], v[14:15], v[2:3], -v[0:1]
	scratch_load_b128 v[12:15], off, off offset:1568 ; 16-byte Folded Reload
	s_waitcnt vmcnt(0)
	v_mul_f64 v[0:1], v[14:15], v[6:7]
	s_delay_alu instid0(VALU_DEP_1)
	v_fma_f64 v[94:95], v[12:13], v[4:5], v[0:1]
	v_mul_f64 v[0:1], v[14:15], v[4:5]
	scratch_load_b128 v[2:5], off, off offset:1600 ; 16-byte Folded Reload
	v_fma_f64 v[96:97], v[12:13], v[6:7], -v[0:1]
	s_waitcnt vmcnt(0) lgkmcnt(0)
	v_mul_f64 v[0:1], v[4:5], v[10:11]
	s_delay_alu instid0(VALU_DEP_1) | instskip(SKIP_1) | instid1(VALU_DEP_1)
	v_fma_f64 v[98:99], v[2:3], v[8:9], v[0:1]
	v_mul_f64 v[0:1], v[4:5], v[8:9]
	v_fma_f64 v[100:101], v[2:3], v[10:11], -v[0:1]
	ds_load_b128 v[0:3], v152 offset:18144
	ds_load_b128 v[4:7], v152 offset:19440
	scratch_load_b128 v[10:13], off, off offset:1552 ; 16-byte Folded Reload
	s_waitcnt vmcnt(0) lgkmcnt(1)
	v_mul_f64 v[8:9], v[12:13], v[2:3]
	s_delay_alu instid0(VALU_DEP_1) | instskip(SKIP_1) | instid1(VALU_DEP_1)
	v_fma_f64 v[102:103], v[10:11], v[0:1], v[8:9]
	v_mul_f64 v[0:1], v[12:13], v[0:1]
	v_fma_f64 v[104:105], v[10:11], v[2:3], -v[0:1]
	ds_load_b128 v[0:3], v152 offset:31104
	ds_load_b128 v[8:11], v152 offset:32400
	scratch_load_b128 v[14:17], off, off offset:1504 ; 16-byte Folded Reload
	s_waitcnt vmcnt(0) lgkmcnt(1)
	v_mul_f64 v[12:13], v[16:17], v[2:3]
	s_delay_alu instid0(VALU_DEP_1) | instskip(SKIP_1) | instid1(VALU_DEP_1)
	v_fma_f64 v[106:107], v[14:15], v[0:1], v[12:13]
	v_mul_f64 v[0:1], v[16:17], v[0:1]
	v_fma_f64 v[108:109], v[14:15], v[2:3], -v[0:1]
	v_mul_f64 v[0:1], v[202:203], v[6:7]
	s_delay_alu instid0(VALU_DEP_1)
	v_fma_f64 v[28:29], v[200:201], v[4:5], v[0:1]
	v_mul_f64 v[0:1], v[202:203], v[4:5]
	scratch_load_b128 v[2:5], off, off offset:1648 ; 16-byte Folded Reload
	v_fma_f64 v[110:111], v[200:201], v[6:7], -v[0:1]
	s_waitcnt vmcnt(0) lgkmcnt(0)
	v_mul_f64 v[0:1], v[4:5], v[10:11]
	s_delay_alu instid0(VALU_DEP_1) | instskip(SKIP_1) | instid1(VALU_DEP_1)
	v_fma_f64 v[112:113], v[2:3], v[8:9], v[0:1]
	v_mul_f64 v[0:1], v[4:5], v[8:9]
	v_fma_f64 v[114:115], v[2:3], v[10:11], -v[0:1]
	ds_load_b128 v[0:3], v152 offset:20736
	ds_load_b128 v[4:7], v152 offset:22032
	scratch_load_b128 v[10:13], off, off offset:1616 ; 16-byte Folded Reload
	s_waitcnt vmcnt(0) lgkmcnt(1)
	v_mul_f64 v[8:9], v[12:13], v[2:3]
	s_delay_alu instid0(VALU_DEP_1) | instskip(SKIP_1) | instid1(VALU_DEP_1)
	v_fma_f64 v[24:25], v[10:11], v[0:1], v[8:9]
	v_mul_f64 v[0:1], v[12:13], v[0:1]
	v_fma_f64 v[26:27], v[10:11], v[2:3], -v[0:1]
	ds_load_b128 v[0:3], v152 offset:33696
	ds_load_b128 v[8:11], v152 offset:34992
	scratch_load_b128 v[14:17], off, off offset:1584 ; 16-byte Folded Reload
	s_waitcnt vmcnt(0) lgkmcnt(1)
	v_mul_f64 v[12:13], v[16:17], v[2:3]
	s_delay_alu instid0(VALU_DEP_1) | instskip(SKIP_1) | instid1(VALU_DEP_1)
	v_fma_f64 v[116:117], v[14:15], v[0:1], v[12:13]
	v_mul_f64 v[0:1], v[16:17], v[0:1]
	v_fma_f64 v[118:119], v[14:15], v[2:3], -v[0:1]
	v_mul_f64 v[0:1], v[188:189], v[6:7]
	s_delay_alu instid0(VALU_DEP_1) | instskip(SKIP_1) | instid1(VALU_DEP_1)
	v_fma_f64 v[12:13], v[186:187], v[4:5], v[0:1]
	v_mul_f64 v[0:1], v[188:189], v[4:5]
	v_fma_f64 v[18:19], v[186:187], v[6:7], -v[0:1]
	s_waitcnt lgkmcnt(0)
	v_mul_f64 v[0:1], v[194:195], v[10:11]
	s_delay_alu instid0(VALU_DEP_1) | instskip(SKIP_1) | instid1(VALU_DEP_1)
	v_fma_f64 v[16:17], v[192:193], v[8:9], v[0:1]
	v_mul_f64 v[0:1], v[194:195], v[8:9]
	v_fma_f64 v[22:23], v[192:193], v[10:11], -v[0:1]
	ds_load_b128 v[0:3], v152 offset:23328
	ds_load_b128 v[4:7], v152 offset:24624
	s_waitcnt lgkmcnt(1)
	v_mul_f64 v[8:9], v[198:199], v[2:3]
	s_delay_alu instid0(VALU_DEP_1) | instskip(SKIP_1) | instid1(VALU_DEP_1)
	v_fma_f64 v[8:9], v[196:197], v[0:1], v[8:9]
	v_mul_f64 v[0:1], v[198:199], v[0:1]
	v_fma_f64 v[10:11], v[196:197], v[2:3], -v[0:1]
	ds_load_b128 v[0:3], v152 offset:36288
	ds_load_b128 v[30:33], v152 offset:37584
	scratch_load_b128 v[34:37], off, off offset:1632 ; 16-byte Folded Reload
	s_waitcnt vmcnt(0) lgkmcnt(1)
	v_mul_f64 v[14:15], v[36:37], v[2:3]
	s_delay_alu instid0(VALU_DEP_1) | instskip(SKIP_1) | instid1(VALU_DEP_1)
	v_fma_f64 v[14:15], v[34:35], v[0:1], v[14:15]
	v_mul_f64 v[0:1], v[36:37], v[0:1]
	v_fma_f64 v[20:21], v[34:35], v[2:3], -v[0:1]
	v_mul_f64 v[0:1], v[179:180], v[6:7]
	v_mul_f64 v[2:3], v[179:180], v[4:5]
	s_delay_alu instid0(VALU_DEP_2) | instskip(NEXT) | instid1(VALU_DEP_2)
	v_fma_f64 v[0:1], v[177:178], v[4:5], v[0:1]
	v_fma_f64 v[4:5], v[177:178], v[6:7], -v[2:3]
	s_waitcnt lgkmcnt(0)
	v_mul_f64 v[2:3], v[183:184], v[32:33]
	v_mul_f64 v[6:7], v[183:184], v[30:31]
	s_delay_alu instid0(VALU_DEP_2) | instskip(NEXT) | instid1(VALU_DEP_2)
	v_fma_f64 v[2:3], v[181:182], v[30:31], v[2:3]
	v_fma_f64 v[6:7], v[181:182], v[32:33], -v[6:7]
	ds_load_b128 v[30:33], v152
	ds_load_b128 v[34:37], v152 offset:1296
	s_waitcnt lgkmcnt(1)
	v_fma_f64 v[48:49], v[48:49], -0.5, v[32:33]
	v_add_f64 v[32:33], v[32:33], v[40:41]
	v_fma_f64 v[46:47], v[46:47], -0.5, v[30:31]
	v_add_f64 v[30:31], v[30:31], v[38:39]
	v_add_f64 v[40:41], v[40:41], -v[44:45]
	s_delay_alu instid0(VALU_DEP_4) | instskip(SKIP_1) | instid1(VALU_DEP_4)
	v_add_f64 v[32:33], v[32:33], v[44:45]
	v_add_f64 v[44:45], v[38:39], -v[42:43]
	v_add_f64 v[30:31], v[30:31], v[42:43]
	s_delay_alu instid0(VALU_DEP_4) | instskip(SKIP_1) | instid1(VALU_DEP_4)
	v_fma_f64 v[38:39], v[40:41], s[2:3], v[46:47]
	v_fma_f64 v[42:43], v[40:41], s[8:9], v[46:47]
	;; [unrolled: 1-line block ×4, first 2 shown]
	ds_load_b128 v[46:49], v152 offset:2592
	ds_load_b128 v[50:53], v152 offset:3888
	;; [unrolled: 1-line block ×8, first 2 shown]
	s_waitcnt lgkmcnt(0)
	s_barrier
	buffer_gl0_inv
	scratch_load_b32 v120, off, off offset:1436 ; 4-byte Folded Reload
	s_waitcnt vmcnt(0)
	ds_store_b128 v120, v[30:33]
	ds_store_b128 v120, v[38:41] offset:480
	ds_store_b128 v120, v[42:45] offset:960
	v_add_f64 v[30:31], v[78:79], v[82:83]
	v_add_f64 v[42:43], v[78:79], -v[82:83]
	s_delay_alu instid0(VALU_DEP_2) | instskip(SKIP_2) | instid1(VALU_DEP_2)
	v_fma_f64 v[38:39], v[30:31], -0.5, v[34:35]
	v_add_f64 v[30:31], v[80:81], v[84:85]
	v_add_f64 v[34:35], v[34:35], v[78:79]
	v_fma_f64 v[40:41], v[30:31], -0.5, v[36:37]
	v_add_f64 v[30:31], v[36:37], v[80:81]
	v_add_f64 v[36:37], v[80:81], -v[84:85]
	s_delay_alu instid0(VALU_DEP_2) | instskip(SKIP_1) | instid1(VALU_DEP_3)
	v_add_f64 v[32:33], v[30:31], v[84:85]
	v_add_f64 v[30:31], v[34:35], v[82:83]
	v_fma_f64 v[34:35], v[36:37], s[2:3], v[38:39]
	v_fma_f64 v[38:39], v[36:37], s[8:9], v[38:39]
	v_fma_f64 v[36:37], v[42:43], s[8:9], v[40:41]
	v_fma_f64 v[40:41], v[42:43], s[2:3], v[40:41]
	scratch_load_b32 v42, off, off offset:1432 ; 4-byte Folded Reload
	s_waitcnt vmcnt(0)
	ds_store_b128 v42, v[30:33]
	ds_store_b128 v42, v[34:37] offset:480
	ds_store_b128 v42, v[38:41] offset:960
	v_add_f64 v[30:31], v[86:87], v[90:91]
	v_add_f64 v[34:35], v[46:47], v[86:87]
	v_add_f64 v[38:39], v[88:89], -v[92:93]
	v_add_f64 v[42:43], v[86:87], -v[90:91]
	s_delay_alu instid0(VALU_DEP_4) | instskip(SKIP_1) | instid1(VALU_DEP_1)
	v_fma_f64 v[36:37], v[30:31], -0.5, v[46:47]
	v_add_f64 v[30:31], v[88:89], v[92:93]
	v_fma_f64 v[40:41], v[30:31], -0.5, v[48:49]
	v_add_f64 v[30:31], v[48:49], v[88:89]
	s_delay_alu instid0(VALU_DEP_1)
	v_add_f64 v[32:33], v[30:31], v[92:93]
	v_add_f64 v[30:31], v[34:35], v[90:91]
	v_fma_f64 v[34:35], v[38:39], s[2:3], v[36:37]
	v_fma_f64 v[38:39], v[38:39], s[8:9], v[36:37]
	v_fma_f64 v[36:37], v[42:43], s[8:9], v[40:41]
	v_fma_f64 v[40:41], v[42:43], s[2:3], v[40:41]
	scratch_load_b32 v42, off, off offset:1428 ; 4-byte Folded Reload
	s_waitcnt vmcnt(0)
	ds_store_b128 v42, v[30:33]
	ds_store_b128 v42, v[34:37] offset:480
	ds_store_b128 v42, v[38:41] offset:960
	v_add_f64 v[30:31], v[94:95], v[98:99]
	v_add_f64 v[34:35], v[50:51], v[94:95]
	v_add_f64 v[38:39], v[96:97], -v[100:101]
	v_add_f64 v[42:43], v[94:95], -v[98:99]
	s_delay_alu instid0(VALU_DEP_4) | instskip(SKIP_1) | instid1(VALU_DEP_1)
	v_fma_f64 v[36:37], v[30:31], -0.5, v[50:51]
	v_add_f64 v[30:31], v[96:97], v[100:101]
	v_fma_f64 v[40:41], v[30:31], -0.5, v[52:53]
	v_add_f64 v[30:31], v[52:53], v[96:97]
	s_delay_alu instid0(VALU_DEP_1)
	;; [unrolled: 21-line block ×4, first 2 shown]
	v_add_f64 v[32:33], v[30:31], v[114:115]
	v_add_f64 v[30:31], v[34:35], v[112:113]
	v_fma_f64 v[34:35], v[38:39], s[2:3], v[36:37]
	v_fma_f64 v[38:39], v[38:39], s[8:9], v[36:37]
	;; [unrolled: 1-line block ×4, first 2 shown]
	scratch_load_b32 v28, off, off offset:1416 ; 4-byte Folded Reload
	s_waitcnt vmcnt(0)
	ds_store_b128 v28, v[30:33]
	ds_store_b128 v28, v[34:37] offset:480
	ds_store_b128 v28, v[38:41] offset:960
	v_add_f64 v[28:29], v[24:25], v[116:117]
	v_add_f64 v[30:31], v[62:63], v[24:25]
	v_add_f64 v[34:35], v[26:27], -v[118:119]
	v_add_f64 v[24:25], v[24:25], -v[116:117]
	s_delay_alu instid0(VALU_DEP_4) | instskip(SKIP_1) | instid1(VALU_DEP_1)
	v_fma_f64 v[32:33], v[28:29], -0.5, v[62:63]
	v_add_f64 v[28:29], v[26:27], v[118:119]
	v_fma_f64 v[36:37], v[28:29], -0.5, v[64:65]
	v_add_f64 v[28:29], v[64:65], v[26:27]
	v_add_f64 v[26:27], v[30:31], v[116:117]
	v_fma_f64 v[30:31], v[34:35], s[2:3], v[32:33]
	v_fma_f64 v[34:35], v[34:35], s[8:9], v[32:33]
	;; [unrolled: 1-line block ×4, first 2 shown]
	scratch_load_b32 v24, off, off offset:1412 ; 4-byte Folded Reload
	v_add_f64 v[28:29], v[28:29], v[118:119]
	s_waitcnt vmcnt(0)
	ds_store_b128 v24, v[26:29]
	ds_store_b128 v24, v[30:33] offset:480
	ds_store_b128 v24, v[34:37] offset:960
	v_add_f64 v[24:25], v[12:13], v[16:17]
	v_add_f64 v[30:31], v[66:67], v[12:13]
	v_add_f64 v[12:13], v[12:13], -v[16:17]
	s_delay_alu instid0(VALU_DEP_3) | instskip(SKIP_1) | instid1(VALU_DEP_1)
	v_fma_f64 v[26:27], v[24:25], -0.5, v[66:67]
	v_add_f64 v[24:25], v[18:19], v[22:23]
	v_fma_f64 v[28:29], v[24:25], -0.5, v[68:69]
	v_add_f64 v[24:25], v[68:69], v[18:19]
	v_add_f64 v[18:19], v[18:19], -v[22:23]
	s_delay_alu instid0(VALU_DEP_2) | instskip(SKIP_1) | instid1(VALU_DEP_3)
	v_add_f64 v[24:25], v[24:25], v[22:23]
	v_add_f64 v[22:23], v[30:31], v[16:17]
	v_fma_f64 v[16:17], v[18:19], s[2:3], v[26:27]
	v_fma_f64 v[26:27], v[18:19], s[8:9], v[26:27]
	;; [unrolled: 1-line block ×4, first 2 shown]
	scratch_load_b32 v12, off, off offset:1408 ; 4-byte Folded Reload
	s_waitcnt vmcnt(0)
	ds_store_b128 v12, v[22:25]
	ds_store_b128 v12, v[16:19] offset:480
	ds_store_b128 v12, v[26:29] offset:960
	v_add_f64 v[12:13], v[8:9], v[14:15]
	v_add_f64 v[18:19], v[70:71], v[8:9]
	v_add_f64 v[24:25], v[10:11], -v[20:21]
	v_add_f64 v[8:9], v[8:9], -v[14:15]
	s_delay_alu instid0(VALU_DEP_4) | instskip(SKIP_1) | instid1(VALU_DEP_1)
	v_fma_f64 v[16:17], v[12:13], -0.5, v[70:71]
	v_add_f64 v[12:13], v[10:11], v[20:21]
	v_fma_f64 v[22:23], v[12:13], -0.5, v[72:73]
	v_add_f64 v[12:13], v[72:73], v[10:11]
	v_add_f64 v[10:11], v[18:19], v[14:15]
	v_fma_f64 v[14:15], v[24:25], s[2:3], v[16:17]
	v_fma_f64 v[18:19], v[24:25], s[8:9], v[16:17]
	;; [unrolled: 1-line block ×3, first 2 shown]
	v_add_f64 v[12:13], v[12:13], v[20:21]
	v_fma_f64 v[20:21], v[8:9], s[2:3], v[22:23]
	scratch_load_b32 v8, off, off offset:1400 ; 4-byte Folded Reload
	s_waitcnt vmcnt(0)
	ds_store_b128 v8, v[10:13]
	ds_store_b128 v8, v[14:17] offset:480
	ds_store_b128 v8, v[18:21] offset:960
	v_add_f64 v[10:11], v[4:5], v[6:7]
	v_add_f64 v[12:13], v[76:77], v[4:5]
	;; [unrolled: 1-line block ×3, first 2 shown]
	v_add_f64 v[16:17], v[4:5], -v[6:7]
	v_add_f64 v[8:9], v[0:1], v[2:3]
	v_fma_f64 v[10:11], v[10:11], -0.5, v[76:77]
	v_add_f64 v[6:7], v[12:13], v[6:7]
	v_add_f64 v[12:13], v[0:1], -v[2:3]
	v_add_f64 v[4:5], v[14:15], v[2:3]
	v_fma_f64 v[8:9], v[8:9], -0.5, v[74:75]
	s_delay_alu instid0(VALU_DEP_3)
	v_fma_f64 v[2:3], v[12:13], s[8:9], v[10:11]
	v_fma_f64 v[10:11], v[12:13], s[2:3], v[10:11]
	scratch_load_b32 v12, off, off offset:1396 ; 4-byte Folded Reload
	v_fma_f64 v[0:1], v[16:17], s[2:3], v[8:9]
	v_fma_f64 v[8:9], v[16:17], s[8:9], v[8:9]
	s_waitcnt vmcnt(0)
	ds_store_b128 v12, v[4:7]
	ds_store_b128 v12, v[0:3] offset:480
	ds_store_b128 v12, v[8:11] offset:960
	s_waitcnt lgkmcnt(0)
	s_barrier
	buffer_gl0_inv
	ds_load_b128 v[0:3], v152 offset:12960
	ds_load_b128 v[4:7], v152 offset:14256
	scratch_load_b128 v[10:13], off, off offset:1312 ; 16-byte Folded Reload
	s_waitcnt vmcnt(0) lgkmcnt(1)
	v_mul_f64 v[8:9], v[12:13], v[2:3]
	s_delay_alu instid0(VALU_DEP_1) | instskip(SKIP_1) | instid1(VALU_DEP_1)
	v_fma_f64 v[34:35], v[10:11], v[0:1], v[8:9]
	v_mul_f64 v[0:1], v[12:13], v[0:1]
	v_fma_f64 v[36:37], v[10:11], v[2:3], -v[0:1]
	ds_load_b128 v[0:3], v152 offset:25920
	ds_load_b128 v[8:11], v152 offset:27216
	scratch_load_b128 v[14:17], off, off offset:1280 ; 16-byte Folded Reload
	s_waitcnt vmcnt(0) lgkmcnt(1)
	v_mul_f64 v[12:13], v[16:17], v[2:3]
	s_delay_alu instid0(VALU_DEP_1) | instskip(SKIP_1) | instid1(VALU_DEP_2)
	v_fma_f64 v[38:39], v[14:15], v[0:1], v[12:13]
	v_mul_f64 v[0:1], v[16:17], v[0:1]
	v_add_f64 v[50:51], v[34:35], v[38:39]
	s_delay_alu instid0(VALU_DEP_2) | instskip(SKIP_1) | instid1(VALU_DEP_2)
	v_fma_f64 v[40:41], v[14:15], v[2:3], -v[0:1]
	v_mul_f64 v[0:1], v[254:255], v[6:7]
	v_add_f64 v[52:53], v[36:37], v[40:41]
	s_delay_alu instid0(VALU_DEP_2)
	v_fma_f64 v[42:43], v[252:253], v[4:5], v[0:1]
	v_mul_f64 v[0:1], v[254:255], v[4:5]
	scratch_load_b128 v[2:5], off, off offset:1360 ; 16-byte Folded Reload
	v_fma_f64 v[44:45], v[252:253], v[6:7], -v[0:1]
	s_waitcnt vmcnt(0) lgkmcnt(0)
	v_mul_f64 v[0:1], v[4:5], v[10:11]
	s_delay_alu instid0(VALU_DEP_1) | instskip(SKIP_1) | instid1(VALU_DEP_1)
	v_fma_f64 v[46:47], v[2:3], v[8:9], v[0:1]
	v_mul_f64 v[0:1], v[4:5], v[8:9]
	v_fma_f64 v[48:49], v[2:3], v[10:11], -v[0:1]
	ds_load_b128 v[0:3], v152 offset:15552
	ds_load_b128 v[4:7], v152 offset:16848
	scratch_load_b128 v[10:13], off, off offset:1328 ; 16-byte Folded Reload
	s_waitcnt vmcnt(0) lgkmcnt(1)
	v_mul_f64 v[8:9], v[12:13], v[2:3]
	s_delay_alu instid0(VALU_DEP_1) | instskip(SKIP_1) | instid1(VALU_DEP_1)
	v_fma_f64 v[82:83], v[10:11], v[0:1], v[8:9]
	v_mul_f64 v[0:1], v[12:13], v[0:1]
	v_fma_f64 v[84:85], v[10:11], v[2:3], -v[0:1]
	ds_load_b128 v[0:3], v152 offset:28512
	ds_load_b128 v[8:11], v152 offset:29808
	scratch_load_b128 v[14:17], off, off offset:1296 ; 16-byte Folded Reload
	s_waitcnt vmcnt(0) lgkmcnt(1)
	v_mul_f64 v[12:13], v[16:17], v[2:3]
	s_delay_alu instid0(VALU_DEP_1) | instskip(SKIP_1) | instid1(VALU_DEP_1)
	v_fma_f64 v[86:87], v[14:15], v[0:1], v[12:13]
	v_mul_f64 v[0:1], v[16:17], v[0:1]
	v_fma_f64 v[88:89], v[14:15], v[2:3], -v[0:1]
	v_mul_f64 v[0:1], v[238:239], v[6:7]
	s_delay_alu instid0(VALU_DEP_1) | instskip(SKIP_1) | instid1(VALU_DEP_1)
	v_fma_f64 v[90:91], v[236:237], v[4:5], v[0:1]
	v_mul_f64 v[0:1], v[238:239], v[4:5]
	v_fma_f64 v[92:93], v[236:237], v[6:7], -v[0:1]
	s_waitcnt lgkmcnt(0)
	v_mul_f64 v[0:1], v[246:247], v[10:11]
	s_delay_alu instid0(VALU_DEP_1) | instskip(SKIP_1) | instid1(VALU_DEP_1)
	v_fma_f64 v[94:95], v[244:245], v[8:9], v[0:1]
	v_mul_f64 v[0:1], v[246:247], v[8:9]
	v_fma_f64 v[96:97], v[244:245], v[10:11], -v[0:1]
	ds_load_b128 v[0:3], v152 offset:18144
	ds_load_b128 v[4:7], v152 offset:19440
	s_waitcnt lgkmcnt(1)
	v_mul_f64 v[8:9], v[250:251], v[2:3]
	s_delay_alu instid0(VALU_DEP_1) | instskip(SKIP_1) | instid1(VALU_DEP_1)
	v_fma_f64 v[98:99], v[248:249], v[0:1], v[8:9]
	v_mul_f64 v[0:1], v[250:251], v[0:1]
	v_fma_f64 v[100:101], v[248:249], v[2:3], -v[0:1]
	ds_load_b128 v[0:3], v152 offset:31104
	ds_load_b128 v[8:11], v152 offset:32400
	scratch_load_b128 v[14:17], off, off offset:1344 ; 16-byte Folded Reload
	s_waitcnt vmcnt(0) lgkmcnt(1)
	v_mul_f64 v[12:13], v[16:17], v[2:3]
	s_delay_alu instid0(VALU_DEP_1) | instskip(SKIP_1) | instid1(VALU_DEP_1)
	v_fma_f64 v[102:103], v[14:15], v[0:1], v[12:13]
	v_mul_f64 v[0:1], v[16:17], v[0:1]
	v_fma_f64 v[104:105], v[14:15], v[2:3], -v[0:1]
	v_mul_f64 v[0:1], v[226:227], v[6:7]
	s_delay_alu instid0(VALU_DEP_1) | instskip(SKIP_1) | instid1(VALU_DEP_1)
	v_fma_f64 v[106:107], v[224:225], v[4:5], v[0:1]
	v_mul_f64 v[0:1], v[226:227], v[4:5]
	v_fma_f64 v[108:109], v[224:225], v[6:7], -v[0:1]
	s_waitcnt lgkmcnt(0)
	v_mul_f64 v[0:1], v[234:235], v[10:11]
	s_delay_alu instid0(VALU_DEP_1) | instskip(SKIP_1) | instid1(VALU_DEP_1)
	v_fma_f64 v[110:111], v[232:233], v[8:9], v[0:1]
	v_mul_f64 v[0:1], v[234:235], v[8:9]
	v_fma_f64 v[112:113], v[232:233], v[10:11], -v[0:1]
	ds_load_b128 v[0:3], v152 offset:20736
	ds_load_b128 v[4:7], v152 offset:22032
	s_waitcnt lgkmcnt(1)
	;; [unrolled: 28-line block ×3, first 2 shown]
	v_mul_f64 v[8:9], v[222:223], v[2:3]
	s_delay_alu instid0(VALU_DEP_1) | instskip(SKIP_1) | instid1(VALU_DEP_1)
	v_fma_f64 v[8:9], v[220:221], v[0:1], v[8:9]
	v_mul_f64 v[0:1], v[222:223], v[0:1]
	v_fma_f64 v[10:11], v[220:221], v[2:3], -v[0:1]
	ds_load_b128 v[0:3], v152 offset:36288
	ds_load_b128 v[26:29], v152 offset:37584
	s_waitcnt lgkmcnt(1)
	v_mul_f64 v[14:15], v[242:243], v[2:3]
	s_delay_alu instid0(VALU_DEP_1) | instskip(SKIP_1) | instid1(VALU_DEP_1)
	v_fma_f64 v[14:15], v[240:241], v[0:1], v[14:15]
	v_mul_f64 v[0:1], v[242:243], v[0:1]
	v_fma_f64 v[20:21], v[240:241], v[2:3], -v[0:1]
	v_mul_f64 v[0:1], v[206:207], v[6:7]
	v_mul_f64 v[2:3], v[206:207], v[4:5]
	s_delay_alu instid0(VALU_DEP_2) | instskip(NEXT) | instid1(VALU_DEP_2)
	v_fma_f64 v[0:1], v[204:205], v[4:5], v[0:1]
	v_fma_f64 v[4:5], v[204:205], v[6:7], -v[2:3]
	s_waitcnt lgkmcnt(0)
	v_mul_f64 v[2:3], v[210:211], v[28:29]
	v_mul_f64 v[6:7], v[210:211], v[26:27]
	s_delay_alu instid0(VALU_DEP_2) | instskip(NEXT) | instid1(VALU_DEP_2)
	v_fma_f64 v[2:3], v[208:209], v[26:27], v[2:3]
	v_fma_f64 v[6:7], v[208:209], v[28:29], -v[6:7]
	ds_load_b128 v[26:29], v152
	ds_load_b128 v[30:33], v152 offset:1296
	s_waitcnt lgkmcnt(1)
	v_fma_f64 v[52:53], v[52:53], -0.5, v[28:29]
	v_add_f64 v[28:29], v[28:29], v[36:37]
	v_fma_f64 v[50:51], v[50:51], -0.5, v[26:27]
	v_add_f64 v[26:27], v[26:27], v[34:35]
	v_add_f64 v[36:37], v[36:37], -v[40:41]
	s_delay_alu instid0(VALU_DEP_4) | instskip(SKIP_1) | instid1(VALU_DEP_4)
	v_add_f64 v[28:29], v[28:29], v[40:41]
	v_add_f64 v[40:41], v[34:35], -v[38:39]
	v_add_f64 v[26:27], v[26:27], v[38:39]
	s_delay_alu instid0(VALU_DEP_4)
	v_fma_f64 v[34:35], v[36:37], s[2:3], v[50:51]
	v_fma_f64 v[38:39], v[36:37], s[8:9], v[50:51]
	v_add_f64 v[50:51], v[42:43], v[46:47]
	v_fma_f64 v[36:37], v[40:41], s[8:9], v[52:53]
	v_fma_f64 v[40:41], v[40:41], s[2:3], v[52:53]
	v_add_f64 v[52:53], v[44:45], v[48:49]
	s_waitcnt lgkmcnt(0)
	s_delay_alu instid0(VALU_DEP_4) | instskip(SKIP_1) | instid1(VALU_DEP_3)
	v_fma_f64 v[50:51], v[50:51], -0.5, v[30:31]
	v_add_f64 v[30:31], v[30:31], v[42:43]
	v_fma_f64 v[52:53], v[52:53], -0.5, v[32:33]
	v_add_f64 v[32:33], v[32:33], v[44:45]
	v_add_f64 v[44:45], v[44:45], -v[48:49]
	s_delay_alu instid0(VALU_DEP_4) | instskip(NEXT) | instid1(VALU_DEP_3)
	v_add_f64 v[30:31], v[30:31], v[46:47]
	v_add_f64 v[32:33], v[32:33], v[48:49]
	v_add_f64 v[48:49], v[42:43], -v[46:47]
	s_delay_alu instid0(VALU_DEP_4) | instskip(SKIP_1) | instid1(VALU_DEP_3)
	v_fma_f64 v[42:43], v[44:45], s[2:3], v[50:51]
	v_fma_f64 v[46:47], v[44:45], s[8:9], v[50:51]
	v_fma_f64 v[44:45], v[48:49], s[8:9], v[52:53]
	v_fma_f64 v[48:49], v[48:49], s[2:3], v[52:53]
	ds_load_b128 v[50:53], v152 offset:2592
	ds_load_b128 v[54:57], v152 offset:3888
	;; [unrolled: 1-line block ×8, first 2 shown]
	s_waitcnt lgkmcnt(0)
	s_barrier
	buffer_gl0_inv
	ds_store_b128 v152, v[26:29]
	ds_store_b128 v152, v[34:37] offset:1440
	ds_store_b128 v152, v[38:41] offset:2880
	scratch_load_b32 v26, off, off offset:1164 ; 4-byte Folded Reload
	s_waitcnt vmcnt(0)
	ds_store_b128 v26, v[30:33]
	ds_store_b128 v26, v[42:45] offset:1440
	ds_store_b128 v26, v[46:49] offset:2880
	v_add_f64 v[26:27], v[82:83], v[86:87]
	v_add_f64 v[30:31], v[50:51], v[82:83]
	v_add_f64 v[34:35], v[84:85], -v[88:89]
	v_add_f64 v[38:39], v[82:83], -v[86:87]
	s_delay_alu instid0(VALU_DEP_4) | instskip(SKIP_1) | instid1(VALU_DEP_1)
	v_fma_f64 v[32:33], v[26:27], -0.5, v[50:51]
	v_add_f64 v[26:27], v[84:85], v[88:89]
	v_fma_f64 v[36:37], v[26:27], -0.5, v[52:53]
	v_add_f64 v[26:27], v[52:53], v[84:85]
	s_delay_alu instid0(VALU_DEP_1)
	v_add_f64 v[28:29], v[26:27], v[88:89]
	v_add_f64 v[26:27], v[30:31], v[86:87]
	v_fma_f64 v[30:31], v[34:35], s[2:3], v[32:33]
	v_fma_f64 v[34:35], v[34:35], s[8:9], v[32:33]
	v_fma_f64 v[32:33], v[38:39], s[8:9], v[36:37]
	v_fma_f64 v[36:37], v[38:39], s[2:3], v[36:37]
	scratch_load_b32 v38, off, off offset:1144 ; 4-byte Folded Reload
	s_waitcnt vmcnt(0)
	ds_store_b128 v38, v[26:29]
	ds_store_b128 v38, v[30:33] offset:1440
	ds_store_b128 v38, v[34:37] offset:2880
	v_add_f64 v[26:27], v[90:91], v[94:95]
	v_add_f64 v[30:31], v[54:55], v[90:91]
	v_add_f64 v[34:35], v[92:93], -v[96:97]
	v_add_f64 v[38:39], v[90:91], -v[94:95]
	s_delay_alu instid0(VALU_DEP_4) | instskip(SKIP_1) | instid1(VALU_DEP_1)
	v_fma_f64 v[32:33], v[26:27], -0.5, v[54:55]
	v_add_f64 v[26:27], v[92:93], v[96:97]
	v_fma_f64 v[36:37], v[26:27], -0.5, v[56:57]
	v_add_f64 v[26:27], v[56:57], v[92:93]
	s_delay_alu instid0(VALU_DEP_1)
	v_add_f64 v[28:29], v[26:27], v[96:97]
	v_add_f64 v[26:27], v[30:31], v[94:95]
	v_fma_f64 v[30:31], v[34:35], s[2:3], v[32:33]
	v_fma_f64 v[34:35], v[34:35], s[8:9], v[32:33]
	v_fma_f64 v[32:33], v[38:39], s[8:9], v[36:37]
	v_fma_f64 v[36:37], v[38:39], s[2:3], v[36:37]
	scratch_load_b32 v38, off, off offset:1012 ; 4-byte Folded Reload
	s_waitcnt vmcnt(0)
	ds_store_b128 v38, v[26:29]
	ds_store_b128 v38, v[30:33] offset:1440
	ds_store_b128 v38, v[34:37] offset:2880
	v_add_f64 v[26:27], v[98:99], v[102:103]
	v_add_f64 v[30:31], v[58:59], v[98:99]
	v_add_f64 v[34:35], v[100:101], -v[104:105]
	v_add_f64 v[38:39], v[98:99], -v[102:103]
	s_delay_alu instid0(VALU_DEP_4) | instskip(SKIP_1) | instid1(VALU_DEP_1)
	v_fma_f64 v[32:33], v[26:27], -0.5, v[58:59]
	v_add_f64 v[26:27], v[100:101], v[104:105]
	v_fma_f64 v[36:37], v[26:27], -0.5, v[60:61]
	v_add_f64 v[26:27], v[60:61], v[100:101]
	s_delay_alu instid0(VALU_DEP_1)
	v_add_f64 v[28:29], v[26:27], v[104:105]
	v_add_f64 v[26:27], v[30:31], v[102:103]
	v_fma_f64 v[30:31], v[34:35], s[2:3], v[32:33]
	v_fma_f64 v[34:35], v[34:35], s[8:9], v[32:33]
	v_fma_f64 v[32:33], v[38:39], s[8:9], v[36:37]
	v_fma_f64 v[36:37], v[38:39], s[2:3], v[36:37]
	scratch_load_b32 v38, off, off offset:976 ; 4-byte Folded Reload
	s_waitcnt vmcnt(0)
	ds_store_b128 v38, v[26:29]
	ds_store_b128 v38, v[30:33] offset:1440
	ds_store_b128 v38, v[34:37] offset:2880
	v_add_f64 v[26:27], v[106:107], v[110:111]
	v_add_f64 v[30:31], v[62:63], v[106:107]
	v_add_f64 v[34:35], v[108:109], -v[112:113]
	v_add_f64 v[38:39], v[106:107], -v[110:111]
	s_delay_alu instid0(VALU_DEP_4) | instskip(SKIP_1) | instid1(VALU_DEP_1)
	v_fma_f64 v[32:33], v[26:27], -0.5, v[62:63]
	v_add_f64 v[26:27], v[108:109], v[112:113]
	v_fma_f64 v[36:37], v[26:27], -0.5, v[64:65]
	v_add_f64 v[26:27], v[64:65], v[108:109]
	s_delay_alu instid0(VALU_DEP_1)
	v_add_f64 v[28:29], v[26:27], v[112:113]
	v_add_f64 v[26:27], v[30:31], v[110:111]
	v_fma_f64 v[30:31], v[34:35], s[2:3], v[32:33]
	v_fma_f64 v[34:35], v[34:35], s[8:9], v[32:33]
	v_fma_f64 v[32:33], v[38:39], s[8:9], v[36:37]
	v_fma_f64 v[36:37], v[38:39], s[2:3], v[36:37]
	scratch_load_b32 v38, off, off offset:972 ; 4-byte Folded Reload
	s_waitcnt vmcnt(0)
	ds_store_b128 v38, v[26:29]
	ds_store_b128 v38, v[30:33] offset:1440
	ds_store_b128 v38, v[34:37] offset:2880
	v_add_f64 v[26:27], v[24:25], v[116:117]
	v_add_f64 v[30:31], v[66:67], v[24:25]
	v_add_f64 v[34:35], v[114:115], -v[118:119]
	v_add_f64 v[24:25], v[24:25], -v[116:117]
	s_delay_alu instid0(VALU_DEP_4) | instskip(SKIP_1) | instid1(VALU_DEP_1)
	v_fma_f64 v[32:33], v[26:27], -0.5, v[66:67]
	v_add_f64 v[26:27], v[114:115], v[118:119]
	v_fma_f64 v[36:37], v[26:27], -0.5, v[68:69]
	v_add_f64 v[26:27], v[68:69], v[114:115]
	s_delay_alu instid0(VALU_DEP_1)
	v_add_f64 v[28:29], v[26:27], v[118:119]
	v_add_f64 v[26:27], v[30:31], v[116:117]
	v_fma_f64 v[30:31], v[34:35], s[2:3], v[32:33]
	v_fma_f64 v[34:35], v[34:35], s[8:9], v[32:33]
	v_fma_f64 v[32:33], v[24:25], s[8:9], v[36:37]
	v_fma_f64 v[36:37], v[24:25], s[2:3], v[36:37]
	scratch_load_b32 v24, off, off offset:916 ; 4-byte Folded Reload
	s_waitcnt vmcnt(0)
	ds_store_b128 v24, v[26:29]
	ds_store_b128 v24, v[30:33] offset:1440
	ds_store_b128 v24, v[34:37] offset:2880
	v_add_f64 v[24:25], v[12:13], v[16:17]
	v_add_f64 v[30:31], v[70:71], v[12:13]
	v_add_f64 v[12:13], v[12:13], -v[16:17]
	s_delay_alu instid0(VALU_DEP_3) | instskip(SKIP_1) | instid1(VALU_DEP_1)
	v_fma_f64 v[26:27], v[24:25], -0.5, v[70:71]
	v_add_f64 v[24:25], v[18:19], v[22:23]
	v_fma_f64 v[28:29], v[24:25], -0.5, v[72:73]
	v_add_f64 v[24:25], v[72:73], v[18:19]
	v_add_f64 v[18:19], v[18:19], -v[22:23]
	s_delay_alu instid0(VALU_DEP_2) | instskip(SKIP_1) | instid1(VALU_DEP_3)
	v_add_f64 v[24:25], v[24:25], v[22:23]
	v_add_f64 v[22:23], v[30:31], v[16:17]
	v_fma_f64 v[16:17], v[18:19], s[2:3], v[26:27]
	v_fma_f64 v[26:27], v[18:19], s[8:9], v[26:27]
	;; [unrolled: 1-line block ×4, first 2 shown]
	scratch_load_b32 v12, off, off offset:896 ; 4-byte Folded Reload
	s_waitcnt vmcnt(0)
	ds_store_b128 v12, v[22:25]
	ds_store_b128 v12, v[16:19] offset:1440
	ds_store_b128 v12, v[26:29] offset:2880
	v_add_f64 v[12:13], v[8:9], v[14:15]
	v_add_f64 v[18:19], v[74:75], v[8:9]
	v_add_f64 v[24:25], v[10:11], -v[20:21]
	v_add_f64 v[8:9], v[8:9], -v[14:15]
	s_delay_alu instid0(VALU_DEP_4) | instskip(SKIP_1) | instid1(VALU_DEP_1)
	v_fma_f64 v[16:17], v[12:13], -0.5, v[74:75]
	v_add_f64 v[12:13], v[10:11], v[20:21]
	v_fma_f64 v[22:23], v[12:13], -0.5, v[76:77]
	v_add_f64 v[12:13], v[76:77], v[10:11]
	v_add_f64 v[10:11], v[18:19], v[14:15]
	v_fma_f64 v[14:15], v[24:25], s[2:3], v[16:17]
	v_fma_f64 v[18:19], v[24:25], s[8:9], v[16:17]
	;; [unrolled: 1-line block ×3, first 2 shown]
	v_add_f64 v[12:13], v[12:13], v[20:21]
	v_fma_f64 v[20:21], v[8:9], s[2:3], v[22:23]
	scratch_load_b32 v8, off, off offset:936 ; 4-byte Folded Reload
	s_waitcnt vmcnt(0)
	ds_store_b128 v8, v[10:13]
	ds_store_b128 v8, v[14:17] offset:1440
	ds_store_b128 v8, v[18:21] offset:2880
	v_add_f64 v[10:11], v[4:5], v[6:7]
	v_add_f64 v[12:13], v[80:81], v[4:5]
	;; [unrolled: 1-line block ×3, first 2 shown]
	v_add_f64 v[16:17], v[4:5], -v[6:7]
	v_add_f64 v[8:9], v[0:1], v[2:3]
	v_fma_f64 v[10:11], v[10:11], -0.5, v[80:81]
	v_add_f64 v[6:7], v[12:13], v[6:7]
	v_add_f64 v[12:13], v[0:1], -v[2:3]
	v_add_f64 v[4:5], v[14:15], v[2:3]
	v_fma_f64 v[8:9], v[8:9], -0.5, v[78:79]
	s_delay_alu instid0(VALU_DEP_3)
	v_fma_f64 v[2:3], v[12:13], s[8:9], v[10:11]
	v_fma_f64 v[10:11], v[12:13], s[2:3], v[10:11]
	scratch_load_b32 v12, off, off offset:1932 ; 4-byte Folded Reload
	v_fma_f64 v[0:1], v[16:17], s[2:3], v[8:9]
	v_fma_f64 v[8:9], v[16:17], s[8:9], v[8:9]
	s_waitcnt vmcnt(0)
	ds_store_b128 v12, v[4:7] offset:34560
	ds_store_b128 v12, v[0:3] offset:36000
	;; [unrolled: 1-line block ×3, first 2 shown]
	s_waitcnt lgkmcnt(0)
	s_barrier
	buffer_gl0_inv
	ds_load_b128 v[0:3], v152 offset:12960
	ds_load_b128 v[4:7], v152 offset:14256
	scratch_load_b128 v[10:13], off, off offset:528 ; 16-byte Folded Reload
	s_waitcnt vmcnt(0) lgkmcnt(1)
	v_mul_f64 v[8:9], v[12:13], v[2:3]
	s_delay_alu instid0(VALU_DEP_1) | instskip(SKIP_1) | instid1(VALU_DEP_1)
	v_fma_f64 v[32:33], v[10:11], v[0:1], v[8:9]
	v_mul_f64 v[0:1], v[12:13], v[0:1]
	v_fma_f64 v[34:35], v[10:11], v[2:3], -v[0:1]
	ds_load_b128 v[0:3], v152 offset:25920
	ds_load_b128 v[8:11], v152 offset:27216
	scratch_load_b128 v[14:17], off, off offset:512 ; 16-byte Folded Reload
	s_waitcnt vmcnt(0) lgkmcnt(1)
	v_mul_f64 v[12:13], v[16:17], v[2:3]
	s_delay_alu instid0(VALU_DEP_1) | instskip(SKIP_1) | instid1(VALU_DEP_2)
	v_fma_f64 v[36:37], v[14:15], v[0:1], v[12:13]
	v_mul_f64 v[0:1], v[16:17], v[0:1]
	v_add_f64 v[48:49], v[32:33], v[36:37]
	s_delay_alu instid0(VALU_DEP_2) | instskip(SKIP_4) | instid1(VALU_DEP_1)
	v_fma_f64 v[38:39], v[14:15], v[2:3], -v[0:1]
	scratch_load_b128 v[12:15], off, off offset:544 ; 16-byte Folded Reload
	v_add_f64 v[50:51], v[34:35], v[38:39]
	s_waitcnt vmcnt(0)
	v_mul_f64 v[0:1], v[14:15], v[6:7]
	v_fma_f64 v[40:41], v[12:13], v[4:5], v[0:1]
	v_mul_f64 v[0:1], v[14:15], v[4:5]
	scratch_load_b128 v[2:5], off, off offset:576 ; 16-byte Folded Reload
	v_fma_f64 v[42:43], v[12:13], v[6:7], -v[0:1]
	s_waitcnt vmcnt(0) lgkmcnt(0)
	v_mul_f64 v[0:1], v[4:5], v[10:11]
	s_delay_alu instid0(VALU_DEP_1) | instskip(SKIP_1) | instid1(VALU_DEP_1)
	v_fma_f64 v[44:45], v[2:3], v[8:9], v[0:1]
	v_mul_f64 v[0:1], v[4:5], v[8:9]
	v_fma_f64 v[46:47], v[2:3], v[10:11], -v[0:1]
	ds_load_b128 v[0:3], v152 offset:15552
	ds_load_b128 v[4:7], v152 offset:16848
	scratch_load_b128 v[10:13], off, off offset:592 ; 16-byte Folded Reload
	s_waitcnt vmcnt(0) lgkmcnt(1)
	v_mul_f64 v[8:9], v[12:13], v[2:3]
	s_delay_alu instid0(VALU_DEP_1) | instskip(SKIP_1) | instid1(VALU_DEP_1)
	v_fma_f64 v[56:57], v[10:11], v[0:1], v[8:9]
	v_mul_f64 v[0:1], v[12:13], v[0:1]
	v_fma_f64 v[58:59], v[10:11], v[2:3], -v[0:1]
	ds_load_b128 v[0:3], v152 offset:28512
	ds_load_b128 v[8:11], v152 offset:29808
	scratch_load_b128 v[14:17], off, off offset:560 ; 16-byte Folded Reload
	s_waitcnt vmcnt(0) lgkmcnt(1)
	v_mul_f64 v[12:13], v[16:17], v[2:3]
	s_delay_alu instid0(VALU_DEP_1) | instskip(SKIP_1) | instid1(VALU_DEP_2)
	v_fma_f64 v[60:61], v[14:15], v[0:1], v[12:13]
	v_mul_f64 v[0:1], v[16:17], v[0:1]
	v_add_f64 v[72:73], v[56:57], v[60:61]
	s_delay_alu instid0(VALU_DEP_2) | instskip(SKIP_4) | instid1(VALU_DEP_1)
	v_fma_f64 v[62:63], v[14:15], v[2:3], -v[0:1]
	scratch_load_b128 v[12:15], off, off offset:608 ; 16-byte Folded Reload
	v_add_f64 v[74:75], v[58:59], v[62:63]
	s_waitcnt vmcnt(0)
	v_mul_f64 v[0:1], v[14:15], v[6:7]
	v_fma_f64 v[64:65], v[12:13], v[4:5], v[0:1]
	v_mul_f64 v[0:1], v[14:15], v[4:5]
	scratch_load_b128 v[2:5], off, off offset:624 ; 16-byte Folded Reload
	v_fma_f64 v[66:67], v[12:13], v[6:7], -v[0:1]
	s_waitcnt vmcnt(0) lgkmcnt(0)
	v_mul_f64 v[0:1], v[4:5], v[10:11]
	s_delay_alu instid0(VALU_DEP_1) | instskip(SKIP_1) | instid1(VALU_DEP_1)
	v_fma_f64 v[68:69], v[2:3], v[8:9], v[0:1]
	v_mul_f64 v[0:1], v[4:5], v[8:9]
	v_fma_f64 v[70:71], v[2:3], v[10:11], -v[0:1]
	ds_load_b128 v[0:3], v152 offset:18144
	ds_load_b128 v[4:7], v152 offset:19440
	scratch_load_b128 v[10:13], off, off offset:640 ; 16-byte Folded Reload
	s_waitcnt vmcnt(0) lgkmcnt(1)
	v_mul_f64 v[8:9], v[12:13], v[2:3]
	s_delay_alu instid0(VALU_DEP_1) | instskip(SKIP_1) | instid1(VALU_DEP_1)
	v_fma_f64 v[96:97], v[10:11], v[0:1], v[8:9]
	v_mul_f64 v[0:1], v[12:13], v[0:1]
	v_fma_f64 v[98:99], v[10:11], v[2:3], -v[0:1]
	ds_load_b128 v[0:3], v152 offset:31104
	ds_load_b128 v[8:11], v152 offset:32400
	scratch_load_b128 v[14:17], off, off offset:656 ; 16-byte Folded Reload
	s_waitcnt vmcnt(0) lgkmcnt(1)
	v_mul_f64 v[12:13], v[16:17], v[2:3]
	s_delay_alu instid0(VALU_DEP_1) | instskip(SKIP_1) | instid1(VALU_DEP_1)
	v_fma_f64 v[100:101], v[14:15], v[0:1], v[12:13]
	v_mul_f64 v[0:1], v[16:17], v[0:1]
	v_fma_f64 v[102:103], v[14:15], v[2:3], -v[0:1]
	scratch_load_b128 v[12:15], off, off offset:688 ; 16-byte Folded Reload
	s_waitcnt vmcnt(0)
	v_mul_f64 v[0:1], v[14:15], v[6:7]
	s_delay_alu instid0(VALU_DEP_1)
	v_fma_f64 v[104:105], v[12:13], v[4:5], v[0:1]
	v_mul_f64 v[0:1], v[14:15], v[4:5]
	scratch_load_b128 v[2:5], off, off offset:672 ; 16-byte Folded Reload
	v_fma_f64 v[106:107], v[12:13], v[6:7], -v[0:1]
	s_waitcnt vmcnt(0) lgkmcnt(0)
	v_mul_f64 v[0:1], v[4:5], v[10:11]
	s_delay_alu instid0(VALU_DEP_1) | instskip(SKIP_1) | instid1(VALU_DEP_1)
	v_fma_f64 v[108:109], v[2:3], v[8:9], v[0:1]
	v_mul_f64 v[0:1], v[4:5], v[8:9]
	v_fma_f64 v[110:111], v[2:3], v[10:11], -v[0:1]
	ds_load_b128 v[0:3], v152 offset:20736
	ds_load_b128 v[4:7], v152 offset:22032
	scratch_load_b128 v[10:13], off, off offset:704 ; 16-byte Folded Reload
	s_waitcnt vmcnt(0) lgkmcnt(1)
	v_mul_f64 v[8:9], v[12:13], v[2:3]
	s_delay_alu instid0(VALU_DEP_1) | instskip(SKIP_1) | instid1(VALU_DEP_1)
	v_fma_f64 v[112:113], v[10:11], v[0:1], v[8:9]
	v_mul_f64 v[0:1], v[12:13], v[0:1]
	v_fma_f64 v[114:115], v[10:11], v[2:3], -v[0:1]
	ds_load_b128 v[0:3], v152 offset:33696
	ds_load_b128 v[8:11], v152 offset:34992
	scratch_load_b128 v[14:17], off, off offset:720 ; 16-byte Folded Reload
	s_waitcnt vmcnt(0) lgkmcnt(1)
	v_mul_f64 v[12:13], v[16:17], v[2:3]
	s_delay_alu instid0(VALU_DEP_1) | instskip(SKIP_1) | instid1(VALU_DEP_1)
	v_fma_f64 v[116:117], v[14:15], v[0:1], v[12:13]
	v_mul_f64 v[0:1], v[16:17], v[0:1]
	v_fma_f64 v[118:119], v[14:15], v[2:3], -v[0:1]
	scratch_load_b128 v[14:17], off, off offset:752 ; 16-byte Folded Reload
	s_waitcnt vmcnt(0)
	v_mul_f64 v[0:1], v[16:17], v[6:7]
	s_delay_alu instid0(VALU_DEP_1)
	v_fma_f64 v[12:13], v[14:15], v[4:5], v[0:1]
	v_mul_f64 v[0:1], v[16:17], v[4:5]
	scratch_load_b128 v[2:5], off, off offset:736 ; 16-byte Folded Reload
	v_fma_f64 v[18:19], v[14:15], v[6:7], -v[0:1]
	s_waitcnt vmcnt(0) lgkmcnt(0)
	v_mul_f64 v[0:1], v[4:5], v[10:11]
	s_delay_alu instid0(VALU_DEP_1) | instskip(SKIP_1) | instid1(VALU_DEP_1)
	v_fma_f64 v[16:17], v[2:3], v[8:9], v[0:1]
	v_mul_f64 v[0:1], v[4:5], v[8:9]
	v_fma_f64 v[22:23], v[2:3], v[10:11], -v[0:1]
	ds_load_b128 v[0:3], v152 offset:23328
	ds_load_b128 v[4:7], v152 offset:24624
	scratch_load_b128 v[24:27], off, off offset:768 ; 16-byte Folded Reload
	s_waitcnt vmcnt(0) lgkmcnt(1)
	v_mul_f64 v[8:9], v[26:27], v[2:3]
	s_delay_alu instid0(VALU_DEP_1) | instskip(SKIP_1) | instid1(VALU_DEP_1)
	v_fma_f64 v[8:9], v[24:25], v[0:1], v[8:9]
	v_mul_f64 v[0:1], v[26:27], v[0:1]
	v_fma_f64 v[10:11], v[24:25], v[2:3], -v[0:1]
	ds_load_b128 v[0:3], v152 offset:36288
	ds_load_b128 v[24:27], v152 offset:37584
	scratch_load_b128 v[28:31], off, off offset:784 ; 16-byte Folded Reload
	s_waitcnt vmcnt(0) lgkmcnt(1)
	v_mul_f64 v[14:15], v[30:31], v[2:3]
	s_delay_alu instid0(VALU_DEP_1) | instskip(SKIP_1) | instid1(VALU_DEP_1)
	v_fma_f64 v[14:15], v[28:29], v[0:1], v[14:15]
	v_mul_f64 v[0:1], v[30:31], v[0:1]
	v_fma_f64 v[20:21], v[28:29], v[2:3], -v[0:1]
	scratch_load_b128 v[28:31], off, off offset:832 ; 16-byte Folded Reload
	s_waitcnt vmcnt(0)
	v_mul_f64 v[0:1], v[30:31], v[6:7]
	v_mul_f64 v[2:3], v[30:31], v[4:5]
	s_delay_alu instid0(VALU_DEP_2) | instskip(NEXT) | instid1(VALU_DEP_2)
	v_fma_f64 v[0:1], v[28:29], v[4:5], v[0:1]
	v_fma_f64 v[4:5], v[28:29], v[6:7], -v[2:3]
	scratch_load_b128 v[28:31], off, off offset:816 ; 16-byte Folded Reload
	s_waitcnt vmcnt(0) lgkmcnt(0)
	v_mul_f64 v[2:3], v[30:31], v[26:27]
	v_mul_f64 v[6:7], v[30:31], v[24:25]
	s_delay_alu instid0(VALU_DEP_2) | instskip(NEXT) | instid1(VALU_DEP_2)
	v_fma_f64 v[2:3], v[28:29], v[24:25], v[2:3]
	v_fma_f64 v[6:7], v[28:29], v[26:27], -v[6:7]
	ds_load_b128 v[24:27], v152
	ds_load_b128 v[28:31], v152 offset:1296
	s_waitcnt lgkmcnt(1)
	v_fma_f64 v[50:51], v[50:51], -0.5, v[26:27]
	v_add_f64 v[26:27], v[26:27], v[34:35]
	v_fma_f64 v[48:49], v[48:49], -0.5, v[24:25]
	v_add_f64 v[24:25], v[24:25], v[32:33]
	v_add_f64 v[34:35], v[34:35], -v[38:39]
	s_delay_alu instid0(VALU_DEP_4) | instskip(SKIP_1) | instid1(VALU_DEP_4)
	v_add_f64 v[26:27], v[26:27], v[38:39]
	v_add_f64 v[38:39], v[32:33], -v[36:37]
	v_add_f64 v[24:25], v[24:25], v[36:37]
	s_delay_alu instid0(VALU_DEP_4)
	v_fma_f64 v[32:33], v[34:35], s[2:3], v[48:49]
	v_fma_f64 v[36:37], v[34:35], s[8:9], v[48:49]
	v_add_f64 v[48:49], v[40:41], v[44:45]
	v_fma_f64 v[34:35], v[38:39], s[8:9], v[50:51]
	v_fma_f64 v[38:39], v[38:39], s[2:3], v[50:51]
	v_add_f64 v[50:51], v[42:43], v[46:47]
	s_waitcnt lgkmcnt(0)
	s_delay_alu instid0(VALU_DEP_4) | instskip(SKIP_1) | instid1(VALU_DEP_3)
	v_fma_f64 v[48:49], v[48:49], -0.5, v[28:29]
	v_add_f64 v[28:29], v[28:29], v[40:41]
	v_fma_f64 v[50:51], v[50:51], -0.5, v[30:31]
	v_add_f64 v[30:31], v[30:31], v[42:43]
	v_add_f64 v[42:43], v[42:43], -v[46:47]
	s_delay_alu instid0(VALU_DEP_4) | instskip(NEXT) | instid1(VALU_DEP_3)
	v_add_f64 v[28:29], v[28:29], v[44:45]
	v_add_f64 v[30:31], v[30:31], v[46:47]
	v_add_f64 v[46:47], v[40:41], -v[44:45]
	s_delay_alu instid0(VALU_DEP_4) | instskip(SKIP_1) | instid1(VALU_DEP_3)
	v_fma_f64 v[40:41], v[42:43], s[2:3], v[48:49]
	v_fma_f64 v[44:45], v[42:43], s[8:9], v[48:49]
	;; [unrolled: 1-line block ×4, first 2 shown]
	ds_load_b128 v[48:51], v152 offset:2592
	ds_load_b128 v[52:55], v152 offset:3888
	s_waitcnt lgkmcnt(1)
	v_fma_f64 v[74:75], v[74:75], -0.5, v[50:51]
	v_add_f64 v[50:51], v[50:51], v[58:59]
	v_fma_f64 v[72:73], v[72:73], -0.5, v[48:49]
	v_add_f64 v[48:49], v[48:49], v[56:57]
	v_add_f64 v[58:59], v[58:59], -v[62:63]
	s_delay_alu instid0(VALU_DEP_4) | instskip(SKIP_1) | instid1(VALU_DEP_4)
	v_add_f64 v[50:51], v[50:51], v[62:63]
	v_add_f64 v[62:63], v[56:57], -v[60:61]
	v_add_f64 v[48:49], v[48:49], v[60:61]
	s_delay_alu instid0(VALU_DEP_4)
	v_fma_f64 v[56:57], v[58:59], s[2:3], v[72:73]
	v_fma_f64 v[60:61], v[58:59], s[8:9], v[72:73]
	v_add_f64 v[72:73], v[64:65], v[68:69]
	v_fma_f64 v[58:59], v[62:63], s[8:9], v[74:75]
	v_fma_f64 v[62:63], v[62:63], s[2:3], v[74:75]
	v_add_f64 v[74:75], v[66:67], v[70:71]
	s_waitcnt lgkmcnt(0)
	s_delay_alu instid0(VALU_DEP_4) | instskip(SKIP_1) | instid1(VALU_DEP_3)
	v_fma_f64 v[72:73], v[72:73], -0.5, v[52:53]
	v_add_f64 v[52:53], v[52:53], v[64:65]
	v_fma_f64 v[74:75], v[74:75], -0.5, v[54:55]
	v_add_f64 v[54:55], v[54:55], v[66:67]
	v_add_f64 v[66:67], v[66:67], -v[70:71]
	s_delay_alu instid0(VALU_DEP_4) | instskip(NEXT) | instid1(VALU_DEP_3)
	v_add_f64 v[52:53], v[52:53], v[68:69]
	v_add_f64 v[54:55], v[54:55], v[70:71]
	v_add_f64 v[70:71], v[64:65], -v[68:69]
	s_delay_alu instid0(VALU_DEP_4) | instskip(SKIP_1) | instid1(VALU_DEP_3)
	v_fma_f64 v[64:65], v[66:67], s[2:3], v[72:73]
	v_fma_f64 v[68:69], v[66:67], s[8:9], v[72:73]
	;; [unrolled: 1-line block ×4, first 2 shown]
	ds_load_b128 v[72:75], v152 offset:5184
	ds_load_b128 v[76:79], v152 offset:6480
	;; [unrolled: 1-line block ×6, first 2 shown]
	s_waitcnt lgkmcnt(0)
	s_barrier
	buffer_gl0_inv
	ds_store_b128 v152, v[24:27]
	ds_store_b128 v152, v[28:31] offset:1296
	ds_store_b128 v152, v[48:51] offset:2592
	;; [unrolled: 1-line block ×8, first 2 shown]
	scratch_load_b32 v185, off, off offset:1928 ; 4-byte Folded Reload
	v_add_f64 v[24:25], v[96:97], v[100:101]
	v_add_f64 v[32:33], v[98:99], -v[102:103]
	v_add_f64 v[36:37], v[96:97], -v[100:101]
	;; [unrolled: 1-line block ×4, first 2 shown]
	s_waitcnt vmcnt(0)
	ds_store_b128 v185, v[52:55]
	ds_store_b128 v185, v[64:67] offset:4320
	ds_store_b128 v185, v[68:71] offset:8640
	v_fma_f64 v[30:31], v[24:25], -0.5, v[72:73]
	v_add_f64 v[24:25], v[98:99], v[102:103]
	v_add_f64 v[28:29], v[72:73], v[96:97]
	v_add_f64 v[40:41], v[76:77], v[104:105]
	v_add_f64 v[52:53], v[80:81], v[112:113]
	v_add_f64 v[56:57], v[114:115], -v[118:119]
	v_add_f64 v[60:61], v[112:113], -v[116:117]
	v_fma_f64 v[34:35], v[24:25], -0.5, v[74:75]
	v_add_f64 v[24:25], v[74:75], v[98:99]
	s_delay_alu instid0(VALU_DEP_1)
	v_add_f64 v[26:27], v[24:25], v[102:103]
	v_add_f64 v[24:25], v[28:29], v[100:101]
	v_fma_f64 v[28:29], v[32:33], s[2:3], v[30:31]
	v_fma_f64 v[32:33], v[32:33], s[8:9], v[30:31]
	;; [unrolled: 1-line block ×4, first 2 shown]
	v_add_f64 v[36:37], v[104:105], v[108:109]
	s_delay_alu instid0(VALU_DEP_1) | instskip(SKIP_1) | instid1(VALU_DEP_1)
	v_fma_f64 v[42:43], v[36:37], -0.5, v[76:77]
	v_add_f64 v[36:37], v[106:107], v[110:111]
	v_fma_f64 v[46:47], v[36:37], -0.5, v[78:79]
	v_add_f64 v[36:37], v[78:79], v[106:107]
	s_delay_alu instid0(VALU_DEP_1)
	v_add_f64 v[38:39], v[36:37], v[110:111]
	v_add_f64 v[36:37], v[40:41], v[108:109]
	v_fma_f64 v[40:41], v[44:45], s[2:3], v[42:43]
	v_fma_f64 v[44:45], v[44:45], s[8:9], v[42:43]
	;; [unrolled: 1-line block ×4, first 2 shown]
	v_add_f64 v[48:49], v[112:113], v[116:117]
	s_delay_alu instid0(VALU_DEP_1) | instskip(SKIP_1) | instid1(VALU_DEP_1)
	v_fma_f64 v[54:55], v[48:49], -0.5, v[80:81]
	v_add_f64 v[48:49], v[114:115], v[118:119]
	v_fma_f64 v[58:59], v[48:49], -0.5, v[82:83]
	v_add_f64 v[48:49], v[82:83], v[114:115]
	s_delay_alu instid0(VALU_DEP_1)
	v_add_f64 v[50:51], v[48:49], v[118:119]
	v_add_f64 v[48:49], v[52:53], v[116:117]
	v_fma_f64 v[52:53], v[56:57], s[2:3], v[54:55]
	v_fma_f64 v[56:57], v[56:57], s[8:9], v[54:55]
	;; [unrolled: 1-line block ×4, first 2 shown]
	ds_store_b128 v152, v[24:27] offset:13824
	ds_store_b128 v152, v[36:39] offset:15120
	;; [unrolled: 1-line block ×6, first 2 shown]
	ds_store_b128 v191, v[48:51]
	ds_store_b128 v191, v[52:55] offset:4320
	ds_store_b128 v191, v[56:59] offset:8640
	v_add_f64 v[24:25], v[12:13], v[16:17]
	v_add_f64 v[30:31], v[84:85], v[12:13]
	v_add_f64 v[32:33], v[18:19], -v[22:23]
	v_add_f64 v[12:13], v[12:13], -v[16:17]
	s_delay_alu instid0(VALU_DEP_4) | instskip(SKIP_1) | instid1(VALU_DEP_1)
	v_fma_f64 v[26:27], v[24:25], -0.5, v[84:85]
	v_add_f64 v[24:25], v[18:19], v[22:23]
	v_fma_f64 v[28:29], v[24:25], -0.5, v[86:87]
	v_add_f64 v[24:25], v[86:87], v[18:19]
	s_delay_alu instid0(VALU_DEP_2) | instskip(NEXT) | instid1(VALU_DEP_2)
	v_fma_f64 v[18:19], v[12:13], s[8:9], v[28:29]
	v_add_f64 v[24:25], v[24:25], v[22:23]
	v_add_f64 v[22:23], v[30:31], v[16:17]
	v_fma_f64 v[16:17], v[32:33], s[2:3], v[26:27]
	v_fma_f64 v[28:29], v[12:13], s[2:3], v[28:29]
	v_add_f64 v[12:13], v[8:9], v[14:15]
	v_fma_f64 v[26:27], v[32:33], s[8:9], v[26:27]
	ds_store_b128 v151, v[16:19] offset:30240
	ds_store_b128 v151, v[22:25] offset:25920
	;; [unrolled: 1-line block ×3, first 2 shown]
	v_fma_f64 v[16:17], v[12:13], -0.5, v[88:89]
	v_add_f64 v[12:13], v[10:11], v[20:21]
	v_add_f64 v[18:19], v[88:89], v[8:9]
	v_add_f64 v[24:25], v[10:11], -v[20:21]
	v_add_f64 v[8:9], v[8:9], -v[14:15]
	s_delay_alu instid0(VALU_DEP_4)
	v_fma_f64 v[22:23], v[12:13], -0.5, v[90:91]
	v_add_f64 v[12:13], v[90:91], v[10:11]
	v_add_f64 v[10:11], v[18:19], v[14:15]
	v_fma_f64 v[14:15], v[24:25], s[2:3], v[16:17]
	v_fma_f64 v[18:19], v[24:25], s[8:9], v[16:17]
	;; [unrolled: 1-line block ×3, first 2 shown]
	v_add_f64 v[12:13], v[12:13], v[20:21]
	v_fma_f64 v[20:21], v[8:9], s[2:3], v[22:23]
	ds_store_b128 v150, v[10:13] offset:25920
	ds_store_b128 v150, v[14:17] offset:30240
	;; [unrolled: 1-line block ×3, first 2 shown]
	v_add_f64 v[8:9], v[0:1], v[2:3]
	v_add_f64 v[10:11], v[4:5], v[6:7]
	;; [unrolled: 1-line block ×4, first 2 shown]
	v_add_f64 v[16:17], v[4:5], -v[6:7]
	v_fma_f64 v[8:9], v[8:9], -0.5, v[92:93]
	v_fma_f64 v[10:11], v[10:11], -0.5, v[94:95]
	v_add_f64 v[6:7], v[12:13], v[6:7]
	v_add_f64 v[12:13], v[0:1], -v[2:3]
	v_add_f64 v[4:5], v[14:15], v[2:3]
	v_fma_f64 v[0:1], v[16:17], s[2:3], v[8:9]
	v_fma_f64 v[8:9], v[16:17], s[8:9], v[8:9]
	s_delay_alu instid0(VALU_DEP_4)
	v_fma_f64 v[2:3], v[12:13], s[8:9], v[10:11]
	v_fma_f64 v[10:11], v[12:13], s[2:3], v[10:11]
	ds_store_b128 v149, v[4:7] offset:25920
	ds_store_b128 v149, v[0:3] offset:30240
	ds_store_b128 v149, v[8:11] offset:34560
	s_waitcnt lgkmcnt(0)
	s_barrier
	buffer_gl0_inv
	ds_load_b128 v[2:5], v152 offset:12960
	ds_load_b128 v[6:9], v152 offset:14256
	scratch_load_b128 v[10:13], off, off offset:800 ; 16-byte Folded Reload
	s_waitcnt vmcnt(0) lgkmcnt(1)
	v_mul_f64 v[0:1], v[12:13], v[4:5]
	s_delay_alu instid0(VALU_DEP_1) | instskip(SKIP_1) | instid1(VALU_DEP_1)
	v_fma_f64 v[0:1], v[10:11], v[2:3], v[0:1]
	v_mul_f64 v[2:3], v[12:13], v[2:3]
	v_fma_f64 v[2:3], v[10:11], v[4:5], -v[2:3]
	ds_load_b128 v[10:13], v152 offset:25920
	ds_load_b128 v[18:21], v152 offset:27216
	scratch_load_b128 v[22:25], off, off offset:848 ; 16-byte Folded Reload
	s_waitcnt vmcnt(0) lgkmcnt(1)
	v_mul_f64 v[4:5], v[24:25], v[12:13]
	s_delay_alu instid0(VALU_DEP_1) | instskip(SKIP_1) | instid1(VALU_DEP_1)
	v_fma_f64 v[16:17], v[22:23], v[10:11], v[4:5]
	v_mul_f64 v[4:5], v[24:25], v[10:11]
	v_fma_f64 v[22:23], v[22:23], v[12:13], -v[4:5]
	scratch_load_b128 v[10:13], off, off offset:880 ; 16-byte Folded Reload
	s_waitcnt vmcnt(0)
	v_mul_f64 v[4:5], v[12:13], v[8:9]
	s_delay_alu instid0(VALU_DEP_1)
	v_fma_f64 v[4:5], v[10:11], v[6:7], v[4:5]
	v_mul_f64 v[6:7], v[12:13], v[6:7]
	scratch_load_b128 v[12:15], off, off offset:864 ; 16-byte Folded Reload
	v_fma_f64 v[8:9], v[10:11], v[8:9], -v[6:7]
	s_waitcnt vmcnt(0) lgkmcnt(0)
	v_mul_f64 v[6:7], v[14:15], v[20:21]
	s_delay_alu instid0(VALU_DEP_1) | instskip(SKIP_1) | instid1(VALU_DEP_1)
	v_fma_f64 v[10:11], v[12:13], v[18:19], v[6:7]
	v_mul_f64 v[6:7], v[14:15], v[18:19]
	v_fma_f64 v[18:19], v[12:13], v[20:21], -v[6:7]
	ds_load_b128 v[12:15], v152 offset:15552
	ds_load_b128 v[24:27], v152 offset:16848
	scratch_load_b128 v[28:31], off, off offset:900 ; 16-byte Folded Reload
	s_waitcnt vmcnt(0) lgkmcnt(1)
	v_mul_f64 v[6:7], v[30:31], v[14:15]
	s_delay_alu instid0(VALU_DEP_1) | instskip(SKIP_1) | instid1(VALU_DEP_1)
	v_fma_f64 v[6:7], v[28:29], v[12:13], v[6:7]
	v_mul_f64 v[12:13], v[30:31], v[12:13]
	v_fma_f64 v[12:13], v[28:29], v[14:15], -v[12:13]
	ds_load_b128 v[28:31], v152 offset:28512
	ds_load_b128 v[32:35], v152 offset:29808
	scratch_load_b128 v[36:39], off, off offset:920 ; 16-byte Folded Reload
	s_waitcnt vmcnt(0) lgkmcnt(1)
	v_mul_f64 v[14:15], v[38:39], v[30:31]
	s_delay_alu instid0(VALU_DEP_1) | instskip(SKIP_1) | instid1(VALU_DEP_1)
	v_fma_f64 v[64:65], v[36:37], v[28:29], v[14:15]
	v_mul_f64 v[14:15], v[38:39], v[28:29]
	v_fma_f64 v[38:39], v[36:37], v[30:31], -v[14:15]
	scratch_load_b128 v[28:31], off, off offset:956 ; 16-byte Folded Reload
	s_waitcnt vmcnt(0)
	v_mul_f64 v[14:15], v[30:31], v[26:27]
	v_mul_f64 v[20:21], v[30:31], v[24:25]
	s_delay_alu instid0(VALU_DEP_2) | instskip(NEXT) | instid1(VALU_DEP_2)
	v_fma_f64 v[14:15], v[28:29], v[24:25], v[14:15]
	v_fma_f64 v[24:25], v[28:29], v[26:27], -v[20:21]
	scratch_load_b128 v[28:31], off, off offset:940 ; 16-byte Folded Reload
	s_waitcnt vmcnt(0) lgkmcnt(0)
	v_mul_f64 v[20:21], v[30:31], v[34:35]
	s_delay_alu instid0(VALU_DEP_1) | instskip(SKIP_1) | instid1(VALU_DEP_1)
	v_fma_f64 v[26:27], v[28:29], v[32:33], v[20:21]
	v_mul_f64 v[20:21], v[30:31], v[32:33]
	v_fma_f64 v[34:35], v[28:29], v[34:35], -v[20:21]
	ds_load_b128 v[28:31], v152 offset:18144
	ds_load_b128 v[40:43], v152 offset:19440
	scratch_load_b128 v[44:47], off, off offset:980 ; 16-byte Folded Reload
	s_waitcnt vmcnt(0) lgkmcnt(1)
	v_mul_f64 v[20:21], v[46:47], v[30:31]
	s_delay_alu instid0(VALU_DEP_1) | instskip(SKIP_1) | instid1(VALU_DEP_1)
	v_fma_f64 v[20:21], v[44:45], v[28:29], v[20:21]
	v_mul_f64 v[28:29], v[46:47], v[28:29]
	v_fma_f64 v[28:29], v[44:45], v[30:31], -v[28:29]
	ds_load_b128 v[30:33], v152 offset:31104
	ds_load_b128 v[44:47], v152 offset:32400
	s_clause 0x1
	scratch_load_b128 v[50:53], off, off offset:996
	scratch_load_b128 v[54:57], off, off offset:1032
	s_waitcnt vmcnt(1) lgkmcnt(1)
	v_mul_f64 v[36:37], v[52:53], v[32:33]
	s_delay_alu instid0(VALU_DEP_1) | instskip(SKIP_1) | instid1(VALU_DEP_1)
	v_fma_f64 v[48:49], v[50:51], v[30:31], v[36:37]
	v_mul_f64 v[30:31], v[52:53], v[30:31]
	v_fma_f64 v[52:53], v[50:51], v[32:33], -v[30:31]
	s_waitcnt vmcnt(0)
	v_mul_f64 v[30:31], v[56:57], v[42:43]
	v_mul_f64 v[32:33], v[56:57], v[40:41]
	s_delay_alu instid0(VALU_DEP_2) | instskip(NEXT) | instid1(VALU_DEP_2)
	v_fma_f64 v[30:31], v[54:55], v[40:41], v[30:31]
	v_fma_f64 v[40:41], v[54:55], v[42:43], -v[32:33]
	scratch_load_b128 v[54:57], off, off offset:1016 ; 16-byte Folded Reload
	s_waitcnt vmcnt(0) lgkmcnt(0)
	v_mul_f64 v[32:33], v[56:57], v[46:47]
	s_delay_alu instid0(VALU_DEP_1) | instskip(SKIP_1) | instid1(VALU_DEP_1)
	v_fma_f64 v[42:43], v[54:55], v[44:45], v[32:33]
	v_mul_f64 v[32:33], v[56:57], v[44:45]
	v_fma_f64 v[50:51], v[54:55], v[46:47], -v[32:33]
	ds_load_b128 v[44:47], v152 offset:20736
	ds_load_b128 v[54:57], v152 offset:22032
	scratch_load_b128 v[58:61], off, off offset:1148 ; 16-byte Folded Reload
	s_waitcnt vmcnt(0) lgkmcnt(1)
	v_mul_f64 v[32:33], v[60:61], v[46:47]
	s_delay_alu instid0(VALU_DEP_1)
	v_fma_f64 v[36:37], v[58:59], v[44:45], v[32:33]
	v_mul_f64 v[32:33], v[60:61], v[44:45]
	ds_load_b128 v[60:63], v152 offset:33696
	ds_load_b128 v[66:69], v152 offset:34992
	scratch_load_b128 v[70:73], off, off offset:1168 ; 16-byte Folded Reload
	v_fma_f64 v[44:45], v[58:59], v[46:47], -v[32:33]
	s_waitcnt vmcnt(0) lgkmcnt(1)
	v_mul_f64 v[32:33], v[72:73], v[62:63]
	s_delay_alu instid0(VALU_DEP_1) | instskip(SKIP_1) | instid1(VALU_DEP_1)
	v_fma_f64 v[58:59], v[70:71], v[60:61], v[32:33]
	v_mul_f64 v[32:33], v[72:73], v[60:61]
	v_fma_f64 v[62:63], v[70:71], v[62:63], -v[32:33]
	scratch_load_b128 v[70:73], off, off offset:1200 ; 16-byte Folded Reload
	s_waitcnt vmcnt(0)
	v_mul_f64 v[32:33], v[72:73], v[56:57]
	s_delay_alu instid0(VALU_DEP_1) | instskip(SKIP_1) | instid1(VALU_DEP_1)
	v_fma_f64 v[46:47], v[70:71], v[54:55], v[32:33]
	v_mul_f64 v[32:33], v[72:73], v[54:55]
	v_fma_f64 v[54:55], v[70:71], v[56:57], -v[32:33]
	scratch_load_b128 v[70:73], off, off offset:1184 ; 16-byte Folded Reload
	s_waitcnt vmcnt(0) lgkmcnt(0)
	v_mul_f64 v[32:33], v[72:73], v[68:69]
	s_delay_alu instid0(VALU_DEP_1) | instskip(SKIP_1) | instid1(VALU_DEP_1)
	v_fma_f64 v[56:57], v[70:71], v[66:67], v[32:33]
	v_mul_f64 v[32:33], v[72:73], v[66:67]
	v_fma_f64 v[60:61], v[70:71], v[68:69], -v[32:33]
	ds_load_b128 v[66:69], v152 offset:23328
	ds_load_b128 v[70:73], v152 offset:24624
	scratch_load_b128 v[74:77], off, off offset:1216 ; 16-byte Folded Reload
	s_waitcnt vmcnt(0) lgkmcnt(1)
	v_mul_f64 v[32:33], v[76:77], v[68:69]
	s_delay_alu instid0(VALU_DEP_1) | instskip(SKIP_1) | instid1(VALU_DEP_1)
	v_fma_f64 v[114:115], v[74:75], v[66:67], v[32:33]
	v_mul_f64 v[32:33], v[76:77], v[66:67]
	v_fma_f64 v[116:117], v[74:75], v[68:69], -v[32:33]
	ds_load_b128 v[66:69], v152 offset:36288
	ds_load_b128 v[74:77], v152 offset:37584
	scratch_load_b128 v[78:81], off, off offset:1232 ; 16-byte Folded Reload
	s_waitcnt vmcnt(0) lgkmcnt(1)
	v_mul_f64 v[32:33], v[80:81], v[68:69]
	s_delay_alu instid0(VALU_DEP_1) | instskip(SKIP_1) | instid1(VALU_DEP_1)
	v_fma_f64 v[118:119], v[78:79], v[66:67], v[32:33]
	v_mul_f64 v[32:33], v[80:81], v[66:67]
	v_fma_f64 v[120:121], v[78:79], v[68:69], -v[32:33]
	scratch_load_b128 v[66:69], off, off offset:1264 ; 16-byte Folded Reload
	s_waitcnt vmcnt(0)
	v_mul_f64 v[32:33], v[68:69], v[72:73]
	s_delay_alu instid0(VALU_DEP_1) | instskip(SKIP_1) | instid1(VALU_DEP_1)
	v_fma_f64 v[122:123], v[66:67], v[70:71], v[32:33]
	v_mul_f64 v[32:33], v[68:69], v[70:71]
	v_fma_f64 v[124:125], v[66:67], v[72:73], -v[32:33]
	scratch_load_b128 v[66:69], off, off offset:1248 ; 16-byte Folded Reload
	s_waitcnt vmcnt(0) lgkmcnt(0)
	v_mul_f64 v[32:33], v[68:69], v[76:77]
	s_delay_alu instid0(VALU_DEP_1) | instskip(SKIP_2) | instid1(VALU_DEP_2)
	v_fma_f64 v[126:127], v[66:67], v[74:75], v[32:33]
	v_mul_f64 v[32:33], v[68:69], v[74:75]
	v_add_f64 v[74:75], v[2:3], v[22:23]
	v_fma_f64 v[128:129], v[66:67], v[76:77], -v[32:33]
	v_add_f64 v[32:33], v[0:1], v[16:17]
	ds_load_b128 v[66:69], v152
	ds_load_b128 v[70:73], v152 offset:1296
	ds_load_b128 v[78:81], v152 offset:2592
	;; [unrolled: 1-line block ×3, first 2 shown]
	s_waitcnt lgkmcnt(3)
	v_fma_f64 v[76:77], v[74:75], -0.5, v[68:69]
	v_add_f64 v[68:69], v[68:69], v[2:3]
	v_add_f64 v[2:3], v[2:3], -v[22:23]
	v_fma_f64 v[32:33], v[32:33], -0.5, v[66:67]
	v_add_f64 v[66:67], v[66:67], v[0:1]
	s_delay_alu instid0(VALU_DEP_4) | instskip(NEXT) | instid1(VALU_DEP_3)
	v_add_f64 v[68:69], v[68:69], v[22:23]
	v_fma_f64 v[74:75], v[2:3], s[8:9], v[32:33]
	s_delay_alu instid0(VALU_DEP_3) | instskip(SKIP_2) | instid1(VALU_DEP_2)
	v_add_f64 v[66:67], v[66:67], v[16:17]
	v_add_f64 v[16:17], v[0:1], -v[16:17]
	v_fma_f64 v[0:1], v[2:3], s[2:3], v[32:33]
	v_fma_f64 v[2:3], v[16:17], s[8:9], v[76:77]
	v_fma_f64 v[76:77], v[16:17], s[2:3], v[76:77]
	v_add_f64 v[16:17], v[4:5], v[10:11]
	s_waitcnt lgkmcnt(2)
	s_delay_alu instid0(VALU_DEP_1) | instskip(SKIP_3) | instid1(VALU_DEP_3)
	v_fma_f64 v[22:23], v[16:17], -0.5, v[70:71]
	v_add_f64 v[16:17], v[8:9], v[18:19]
	v_add_f64 v[70:71], v[70:71], v[4:5]
	v_add_f64 v[4:5], v[4:5], -v[10:11]
	v_fma_f64 v[32:33], v[16:17], -0.5, v[72:73]
	v_add_f64 v[16:17], v[72:73], v[8:9]
	v_add_f64 v[72:73], v[8:9], -v[18:19]
	s_delay_alu instid0(VALU_DEP_2) | instskip(SKIP_1) | instid1(VALU_DEP_3)
	v_add_f64 v[18:19], v[16:17], v[18:19]
	v_add_f64 v[16:17], v[70:71], v[10:11]
	v_fma_f64 v[8:9], v[72:73], s[2:3], v[22:23]
	v_fma_f64 v[70:71], v[72:73], s[8:9], v[22:23]
	;; [unrolled: 1-line block ×4, first 2 shown]
	v_add_f64 v[4:5], v[6:7], v[64:65]
	s_waitcnt lgkmcnt(1)
	s_delay_alu instid0(VALU_DEP_1) | instskip(SKIP_2) | instid1(VALU_DEP_2)
	v_fma_f64 v[22:23], v[4:5], -0.5, v[78:79]
	v_add_f64 v[4:5], v[12:13], v[38:39]
	v_add_f64 v[78:79], v[78:79], v[6:7]
	v_fma_f64 v[32:33], v[4:5], -0.5, v[80:81]
	v_add_f64 v[4:5], v[80:81], v[12:13]
	v_add_f64 v[12:13], v[12:13], -v[38:39]
	s_delay_alu instid0(VALU_DEP_4) | instskip(NEXT) | instid1(VALU_DEP_3)
	v_add_f64 v[78:79], v[78:79], v[64:65]
	v_add_f64 v[80:81], v[4:5], v[38:39]
	v_add_f64 v[38:39], v[6:7], -v[64:65]
	s_delay_alu instid0(VALU_DEP_4)
	v_fma_f64 v[4:5], v[12:13], s[2:3], v[22:23]
	v_fma_f64 v[86:87], v[12:13], s[8:9], v[22:23]
	v_add_f64 v[12:13], v[14:15], v[26:27]
	s_waitcnt lgkmcnt(0)
	v_add_f64 v[22:23], v[82:83], v[14:15]
	v_add_f64 v[64:65], v[24:25], -v[34:35]
	v_fma_f64 v[6:7], v[38:39], s[8:9], v[32:33]
	v_fma_f64 v[88:89], v[38:39], s[2:3], v[32:33]
	v_fma_f64 v[32:33], v[12:13], -0.5, v[82:83]
	v_add_f64 v[12:13], v[24:25], v[34:35]
	v_add_f64 v[22:23], v[22:23], v[26:27]
	v_add_f64 v[26:27], v[14:15], -v[26:27]
	s_delay_alu instid0(VALU_DEP_3)
	v_fma_f64 v[38:39], v[12:13], -0.5, v[84:85]
	v_add_f64 v[12:13], v[84:85], v[24:25]
	ds_load_b128 v[82:85], v152 offset:5184
	ds_load_b128 v[90:93], v152 offset:6480
	;; [unrolled: 1-line block ×6, first 2 shown]
	v_fma_f64 v[14:15], v[26:27], s[8:9], v[38:39]
	v_add_f64 v[24:25], v[12:13], v[34:35]
	v_fma_f64 v[34:35], v[26:27], s[2:3], v[38:39]
	v_add_f64 v[26:27], v[20:21], v[48:49]
	v_fma_f64 v[12:13], v[64:65], s[2:3], v[32:33]
	v_fma_f64 v[32:33], v[64:65], s[8:9], v[32:33]
	s_waitcnt lgkmcnt(5)
	s_delay_alu instid0(VALU_DEP_3) | instskip(SKIP_3) | instid1(VALU_DEP_3)
	v_fma_f64 v[38:39], v[26:27], -0.5, v[82:83]
	v_add_f64 v[26:27], v[28:29], v[52:53]
	v_add_f64 v[82:83], v[82:83], v[20:21]
	v_add_f64 v[20:21], v[20:21], -v[48:49]
	v_fma_f64 v[64:65], v[26:27], -0.5, v[84:85]
	v_add_f64 v[26:27], v[84:85], v[28:29]
	v_add_f64 v[84:85], v[28:29], -v[52:53]
	s_delay_alu instid0(VALU_DEP_3) | instskip(NEXT) | instid1(VALU_DEP_3)
	v_fma_f64 v[96:97], v[20:21], s[2:3], v[64:65]
	v_add_f64 v[28:29], v[26:27], v[52:53]
	v_add_f64 v[26:27], v[82:83], v[48:49]
	s_delay_alu instid0(VALU_DEP_4)
	v_fma_f64 v[82:83], v[84:85], s[2:3], v[38:39]
	v_fma_f64 v[94:95], v[84:85], s[8:9], v[38:39]
	;; [unrolled: 1-line block ×3, first 2 shown]
	v_add_f64 v[20:21], v[30:31], v[42:43]
	v_add_f64 v[38:39], v[40:41], v[50:51]
	s_waitcnt lgkmcnt(4)
	v_add_f64 v[48:49], v[90:91], v[30:31]
	v_add_f64 v[64:65], v[40:41], -v[50:51]
	v_add_f64 v[30:31], v[30:31], -v[42:43]
	v_fma_f64 v[20:21], v[20:21], -0.5, v[90:91]
	v_fma_f64 v[52:53], v[38:39], -0.5, v[92:93]
	v_add_f64 v[38:39], v[92:93], v[40:41]
	s_delay_alu instid0(VALU_DEP_3) | instskip(NEXT) | instid1(VALU_DEP_3)
	v_fma_f64 v[90:91], v[64:65], s[8:9], v[20:21]
	v_fma_f64 v[92:93], v[30:31], s[2:3], v[52:53]
	s_delay_alu instid0(VALU_DEP_3)
	v_add_f64 v[40:41], v[38:39], v[50:51]
	v_add_f64 v[38:39], v[48:49], v[42:43]
	v_fma_f64 v[48:49], v[64:65], s[2:3], v[20:21]
	v_fma_f64 v[50:51], v[30:31], s[8:9], v[52:53]
	v_add_f64 v[20:21], v[36:37], v[58:59]
	v_add_f64 v[30:31], v[44:45], v[62:63]
	s_waitcnt lgkmcnt(3)
	v_add_f64 v[42:43], v[100:101], v[44:45]
	v_add_f64 v[52:53], v[98:99], v[36:37]
	v_add_f64 v[64:65], v[44:45], -v[62:63]
	v_add_f64 v[36:37], v[36:37], -v[58:59]
	v_fma_f64 v[20:21], v[20:21], -0.5, v[98:99]
	v_fma_f64 v[30:31], v[30:31], -0.5, v[100:101]
	v_add_f64 v[44:45], v[42:43], v[62:63]
	v_add_f64 v[42:43], v[52:53], v[58:59]
	s_waitcnt lgkmcnt(2)
	v_add_f64 v[52:53], v[102:103], v[46:47]
	v_add_f64 v[58:59], v[54:55], -v[60:61]
	v_fma_f64 v[62:63], v[64:65], s[2:3], v[20:21]
	v_fma_f64 v[98:99], v[64:65], s[8:9], v[20:21]
	;; [unrolled: 1-line block ×4, first 2 shown]
	v_add_f64 v[20:21], v[46:47], v[56:57]
	v_add_f64 v[30:31], v[54:55], v[60:61]
	;; [unrolled: 1-line block ×4, first 2 shown]
	s_delay_alu instid0(VALU_DEP_4) | instskip(NEXT) | instid1(VALU_DEP_4)
	v_fma_f64 v[20:21], v[20:21], -0.5, v[102:103]
	v_fma_f64 v[30:31], v[30:31], -0.5, v[104:105]
	s_delay_alu instid0(VALU_DEP_4)
	v_add_f64 v[54:55], v[36:37], v[60:61]
	v_add_f64 v[36:37], v[46:47], -v[56:57]
	s_waitcnt lgkmcnt(1)
	v_add_f64 v[46:47], v[106:107], v[114:115]
	v_add_f64 v[60:61], v[116:117], -v[120:121]
	v_fma_f64 v[56:57], v[58:59], s[2:3], v[20:21]
	v_fma_f64 v[102:103], v[58:59], s[8:9], v[20:21]
	v_add_f64 v[20:21], v[114:115], v[118:119]
	v_fma_f64 v[58:59], v[36:37], s[8:9], v[30:31]
	v_fma_f64 v[104:105], v[36:37], s[2:3], v[30:31]
	v_add_f64 v[30:31], v[116:117], v[120:121]
	v_add_f64 v[36:37], v[108:109], v[116:117]
	v_fma_f64 v[20:21], v[20:21], -0.5, v[106:107]
	v_add_f64 v[106:107], v[46:47], v[118:119]
	s_waitcnt lgkmcnt(0)
	v_add_f64 v[46:47], v[110:111], v[122:123]
	v_fma_f64 v[30:31], v[30:31], -0.5, v[108:109]
	v_add_f64 v[108:109], v[36:37], v[120:121]
	v_add_f64 v[36:37], v[114:115], -v[118:119]
	v_fma_f64 v[114:115], v[60:61], s[2:3], v[20:21]
	v_fma_f64 v[118:119], v[60:61], s[8:9], v[20:21]
	v_add_f64 v[20:21], v[122:123], v[126:127]
	v_add_f64 v[60:61], v[124:125], -v[128:129]
	v_fma_f64 v[116:117], v[36:37], s[8:9], v[30:31]
	v_fma_f64 v[120:121], v[36:37], s[2:3], v[30:31]
	v_add_f64 v[30:31], v[124:125], v[128:129]
	v_add_f64 v[36:37], v[112:113], v[124:125]
	v_fma_f64 v[20:21], v[20:21], -0.5, v[110:111]
	v_add_f64 v[110:111], v[46:47], v[126:127]
	s_delay_alu instid0(VALU_DEP_4) | instskip(NEXT) | instid1(VALU_DEP_4)
	v_fma_f64 v[30:31], v[30:31], -0.5, v[112:113]
	v_add_f64 v[112:113], v[36:37], v[128:129]
	v_add_f64 v[36:37], v[122:123], -v[126:127]
	v_fma_f64 v[122:123], v[60:61], s[2:3], v[20:21]
	v_fma_f64 v[126:127], v[60:61], s[8:9], v[20:21]
	s_delay_alu instid0(VALU_DEP_3)
	v_fma_f64 v[124:125], v[36:37], s[8:9], v[30:31]
	v_fma_f64 v[128:129], v[36:37], s[2:3], v[30:31]
	ds_store_b128 v152, v[66:69]
	ds_store_b128 v152, v[16:19] offset:1296
	ds_store_b128 v152, v[78:81] offset:2592
	;; [unrolled: 1-line block ×29, first 2 shown]
	s_waitcnt lgkmcnt(0)
	s_barrier
	buffer_gl0_inv
	ds_load_b128 v[0:3], v152
	ds_load_b128 v[4:7], v152 offset:1296
	scratch_load_b128 v[10:13], off, off offset:476 ; 16-byte Folded Reload
	s_mul_i32 s2, s5, 0xf30
	s_mul_hi_u32 s3, s4, 0xf30
	s_delay_alu instid0(SALU_CYCLE_1) | instskip(SKIP_1) | instid1(SALU_CYCLE_1)
	s_add_i32 s3, s3, s2
	s_mul_i32 s2, s5, 0xffff7c60
	s_sub_i32 s2, s2, s4
	s_waitcnt vmcnt(0) lgkmcnt(1)
	v_mul_f64 v[8:9], v[12:13], v[2:3]
	s_delay_alu instid0(VALU_DEP_1) | instskip(SKIP_1) | instid1(VALU_DEP_1)
	v_fma_f64 v[44:45], v[10:11], v[0:1], v[8:9]
	v_mul_f64 v[0:1], v[12:13], v[0:1]
	v_fma_f64 v[46:47], v[10:11], v[2:3], -v[0:1]
	ds_load_b128 v[0:3], v152 offset:3888
	ds_load_b128 v[8:11], v152 offset:2592
	scratch_load_b128 v[14:17], off, off offset:108 ; 16-byte Folded Reload
	s_waitcnt vmcnt(0) lgkmcnt(1)
	v_mul_f64 v[12:13], v[16:17], v[2:3]
	s_delay_alu instid0(VALU_DEP_1) | instskip(SKIP_1) | instid1(VALU_DEP_1)
	v_fma_f64 v[48:49], v[14:15], v[0:1], v[12:13]
	v_mul_f64 v[0:1], v[16:17], v[0:1]
	v_fma_f64 v[50:51], v[14:15], v[2:3], -v[0:1]
	ds_load_b128 v[0:3], v152 offset:7776
	ds_load_b128 v[12:15], v152 offset:9072
	scratch_load_b128 v[18:21], off, off offset:92 ; 16-byte Folded Reload
	;; [unrolled: 9-line block ×8, first 2 shown]
	s_waitcnt vmcnt(0) lgkmcnt(1)
	v_mul_f64 v[40:41], v[80:81], v[2:3]
	s_delay_alu instid0(VALU_DEP_1) | instskip(SKIP_1) | instid1(VALU_DEP_1)
	v_fma_f64 v[76:77], v[78:79], v[0:1], v[40:41]
	v_mul_f64 v[0:1], v[80:81], v[0:1]
	v_fma_f64 v[78:79], v[78:79], v[2:3], -v[0:1]
	ds_load_b128 v[0:3], v152 offset:34992
	ds_load_b128 v[40:43], v152 offset:33696
	s_clause 0x1
	scratch_load_b128 v[82:85], off, off offset:140
	scratch_load_b128 v[86:89], off, off offset:156
	s_waitcnt vmcnt(1) lgkmcnt(1)
	v_mul_f64 v[80:81], v[84:85], v[2:3]
	s_delay_alu instid0(VALU_DEP_1) | instskip(SKIP_1) | instid1(VALU_DEP_1)
	v_fma_f64 v[80:81], v[82:83], v[0:1], v[80:81]
	v_mul_f64 v[0:1], v[84:85], v[0:1]
	v_fma_f64 v[82:83], v[82:83], v[2:3], -v[0:1]
	s_waitcnt vmcnt(0)
	v_mul_f64 v[0:1], v[88:89], v[6:7]
	s_delay_alu instid0(VALU_DEP_1) | instskip(SKIP_1) | instid1(VALU_DEP_1)
	v_fma_f64 v[84:85], v[86:87], v[4:5], v[0:1]
	v_mul_f64 v[0:1], v[88:89], v[4:5]
	v_fma_f64 v[86:87], v[86:87], v[6:7], -v[0:1]
	ds_load_b128 v[0:3], v152 offset:5184
	ds_load_b128 v[4:7], v152 offset:6480
	s_clause 0x1
	scratch_load_b128 v[90:93], off, off offset:172
	scratch_load_b128 v[94:97], off, off offset:188
	s_waitcnt vmcnt(1) lgkmcnt(1)
	v_mul_f64 v[88:89], v[92:93], v[2:3]
	s_delay_alu instid0(VALU_DEP_1) | instskip(SKIP_1) | instid1(VALU_DEP_1)
	v_fma_f64 v[88:89], v[90:91], v[0:1], v[88:89]
	v_mul_f64 v[0:1], v[92:93], v[0:1]
	v_fma_f64 v[90:91], v[90:91], v[2:3], -v[0:1]
	s_waitcnt vmcnt(0)
	;; [unrolled: 17-line block ×6, first 2 shown]
	v_mul_f64 v[0:1], v[128:129], v[10:11]
	s_delay_alu instid0(VALU_DEP_1) | instskip(SKIP_1) | instid1(VALU_DEP_1)
	v_fma_f64 v[124:125], v[126:127], v[8:9], v[0:1]
	v_mul_f64 v[0:1], v[128:129], v[8:9]
	v_fma_f64 v[126:127], v[126:127], v[10:11], -v[0:1]
	scratch_load_b128 v[8:11], off, off offset:332 ; 16-byte Folded Reload
	s_waitcnt vmcnt(0)
	v_mul_f64 v[0:1], v[10:11], v[6:7]
	s_delay_alu instid0(VALU_DEP_1)
	v_fma_f64 v[128:129], v[8:9], v[4:5], v[0:1]
	v_mul_f64 v[0:1], v[10:11], v[4:5]
	scratch_load_b128 v[2:5], off, off offset:348 ; 16-byte Folded Reload
	v_fma_f64 v[130:131], v[8:9], v[6:7], -v[0:1]
	scratch_load_b32 v6, off, off           ; 4-byte Folded Reload
	s_waitcnt vmcnt(1)
	v_mul_f64 v[0:1], v[4:5], v[18:19]
	s_delay_alu instid0(VALU_DEP_1) | instskip(SKIP_1) | instid1(VALU_DEP_1)
	v_fma_f64 v[132:133], v[2:3], v[16:17], v[0:1]
	v_mul_f64 v[0:1], v[4:5], v[16:17]
	v_fma_f64 v[134:135], v[2:3], v[18:19], -v[0:1]
	scratch_load_b128 v[2:5], off, off offset:364 ; 16-byte Folded Reload
	s_waitcnt vmcnt(0)
	v_mul_f64 v[0:1], v[4:5], v[14:15]
	s_delay_alu instid0(VALU_DEP_1) | instskip(SKIP_1) | instid1(VALU_DEP_1)
	v_fma_f64 v[136:137], v[2:3], v[12:13], v[0:1]
	v_mul_f64 v[0:1], v[4:5], v[12:13]
	v_fma_f64 v[138:139], v[2:3], v[14:15], -v[0:1]
	scratch_load_b128 v[2:5], off, off offset:380 ; 16-byte Folded Reload
	s_waitcnt vmcnt(0)
	v_mul_f64 v[0:1], v[4:5], v[26:27]
	s_delay_alu instid0(VALU_DEP_1) | instskip(SKIP_1) | instid1(VALU_DEP_1)
	v_fma_f64 v[140:141], v[2:3], v[24:25], v[0:1]
	v_mul_f64 v[0:1], v[4:5], v[24:25]
	v_fma_f64 v[142:143], v[2:3], v[26:27], -v[0:1]
	scratch_load_b128 v[2:5], off, off offset:396 ; 16-byte Folded Reload
	s_waitcnt vmcnt(0)
	v_mul_f64 v[0:1], v[4:5], v[22:23]
	s_delay_alu instid0(VALU_DEP_1) | instskip(SKIP_1) | instid1(VALU_DEP_1)
	v_fma_f64 v[144:145], v[2:3], v[20:21], v[0:1]
	v_mul_f64 v[0:1], v[4:5], v[20:21]
	v_fma_f64 v[146:147], v[2:3], v[22:23], -v[0:1]
	scratch_load_b128 v[2:5], off, off offset:412 ; 16-byte Folded Reload
	s_waitcnt vmcnt(0)
	v_mul_f64 v[0:1], v[4:5], v[34:35]
	s_delay_alu instid0(VALU_DEP_1) | instskip(SKIP_1) | instid1(VALU_DEP_1)
	v_fma_f64 v[148:149], v[2:3], v[32:33], v[0:1]
	v_mul_f64 v[0:1], v[4:5], v[32:33]
	v_fma_f64 v[150:151], v[2:3], v[34:35], -v[0:1]
	scratch_load_b128 v[2:5], off, off offset:428 ; 16-byte Folded Reload
	s_waitcnt vmcnt(0)
	v_mul_f64 v[0:1], v[4:5], v[30:31]
	s_delay_alu instid0(VALU_DEP_1) | instskip(SKIP_1) | instid1(VALU_DEP_1)
	v_fma_f64 v[152:153], v[2:3], v[28:29], v[0:1]
	v_mul_f64 v[0:1], v[4:5], v[28:29]
	v_fma_f64 v[154:155], v[2:3], v[30:31], -v[0:1]
	scratch_load_b128 v[2:5], off, off offset:444 ; 16-byte Folded Reload
	s_waitcnt vmcnt(0)
	v_mul_f64 v[0:1], v[4:5], v[42:43]
	s_delay_alu instid0(VALU_DEP_1) | instskip(SKIP_1) | instid1(VALU_DEP_1)
	v_fma_f64 v[156:157], v[2:3], v[40:41], v[0:1]
	v_mul_f64 v[0:1], v[4:5], v[40:41]
	v_fma_f64 v[158:159], v[2:3], v[42:43], -v[0:1]
	scratch_load_b128 v[2:5], off, off offset:460 ; 16-byte Folded Reload
	s_waitcnt vmcnt(0) lgkmcnt(0)
	v_mul_f64 v[0:1], v[4:5], v[38:39]
	s_delay_alu instid0(VALU_DEP_1)
	v_fma_f64 v[160:161], v[2:3], v[36:37], v[0:1]
	v_mul_f64 v[0:1], v[4:5], v[36:37]
	scratch_load_b64 v[4:5], off, off offset:4 ; 8-byte Folded Reload
	v_fma_f64 v[162:163], v[2:3], v[38:39], -v[0:1]
	s_waitcnt vmcnt(0)
	v_mad_u64_u32 v[0:1], null, s6, v4, 0
	s_mul_i32 s6, s4, 0xf30
	s_delay_alu instid0(VALU_DEP_1) | instskip(NEXT) | instid1(VALU_DEP_1)
	v_mad_u64_u32 v[2:3], null, s7, v4, v[1:2]
	v_mov_b32_e32 v1, v2
	v_mad_u64_u32 v[2:3], null, s4, v6, 0
	s_delay_alu instid0(VALU_DEP_2) | instskip(NEXT) | instid1(VALU_DEP_2)
	v_lshlrev_b64 v[0:1], 4, v[0:1]
	v_mad_u64_u32 v[4:5], null, s5, v6, v[3:4]
	s_delay_alu instid0(VALU_DEP_1) | instskip(NEXT) | instid1(VALU_DEP_3)
	v_mov_b32_e32 v3, v4
	v_add_co_u32 v4, vcc_lo, s0, v0
	s_delay_alu instid0(VALU_DEP_4) | instskip(NEXT) | instid1(VALU_DEP_3)
	v_add_co_ci_u32_e32 v5, vcc_lo, s1, v1, vcc_lo
	v_lshlrev_b64 v[0:1], 4, v[2:3]
	s_mov_b32 s0, 0x40e53dbc
	s_mov_b32 s1, 0x3f3af834
	s_delay_alu instid0(SALU_CYCLE_1) | instskip(SKIP_1) | instid1(VALU_DEP_3)
	v_mul_f64 v[2:3], v[46:47], s[0:1]
	v_mul_f64 v[6:7], v[58:59], s[0:1]
	v_add_co_u32 v4, vcc_lo, v4, v0
	v_add_co_ci_u32_e32 v5, vcc_lo, v5, v1, vcc_lo
	v_mul_f64 v[0:1], v[44:45], s[0:1]
	s_delay_alu instid0(VALU_DEP_3) | instskip(NEXT) | instid1(VALU_DEP_3)
	v_add_co_u32 v24, vcc_lo, v4, s6
	v_add_co_ci_u32_e32 v25, vcc_lo, s3, v5, vcc_lo
	v_mul_f64 v[8:9], v[60:61], s[0:1]
	v_mul_f64 v[10:11], v[62:63], s[0:1]
	;; [unrolled: 1-line block ×16, first 2 shown]
	global_store_b128 v[4:5], v[0:3], off
	v_mul_f64 v[0:1], v[48:49], s[0:1]
	v_mul_f64 v[2:3], v[50:51], s[0:1]
	;; [unrolled: 1-line block ×3, first 2 shown]
	global_store_b128 v[24:25], v[0:3], off
	v_mul_f64 v[0:1], v[52:53], s[0:1]
	v_mul_f64 v[2:3], v[54:55], s[0:1]
	v_add_co_u32 v24, vcc_lo, v24, s6
	v_add_co_ci_u32_e32 v25, vcc_lo, s3, v25, vcc_lo
	s_delay_alu instid0(VALU_DEP_2) | instskip(NEXT) | instid1(VALU_DEP_2)
	v_add_co_u32 v26, vcc_lo, v24, s6
	v_add_co_ci_u32_e32 v27, vcc_lo, s3, v25, vcc_lo
	global_store_b128 v[24:25], v[0:3], off
	v_add_co_u32 v0, vcc_lo, v26, s6
	v_add_co_ci_u32_e32 v1, vcc_lo, s3, v27, vcc_lo
	global_store_b128 v[26:27], v[4:7], off
	;; [unrolled: 3-line block ×4, first 2 shown]
	v_add_co_u32 v4, vcc_lo, v24, s6
	v_add_co_ci_u32_e32 v5, vcc_lo, s3, v25, vcc_lo
	v_mul_f64 v[0:1], v[76:77], s[0:1]
	s_delay_alu instid0(VALU_DEP_3) | instskip(NEXT) | instid1(VALU_DEP_3)
	v_add_co_u32 v44, vcc_lo, v4, s6
	v_add_co_ci_u32_e32 v45, vcc_lo, s3, v5, vcc_lo
	v_mul_f64 v[2:3], v[78:79], s[0:1]
	s_delay_alu instid0(VALU_DEP_3) | instskip(NEXT) | instid1(VALU_DEP_3)
	v_add_co_u32 v46, vcc_lo, v44, s6
	v_add_co_ci_u32_e32 v47, vcc_lo, s3, v45, vcc_lo
	global_store_b128 v[24:25], v[16:19], off
	global_store_b128 v[4:5], v[20:23], off
	v_mul_f64 v[4:5], v[80:81], s[0:1]
	v_mul_f64 v[6:7], v[82:83], s[0:1]
	v_mad_u64_u32 v[48:49], null, 0xffff7c60, s4, v[46:47]
	v_mul_f64 v[8:9], v[84:85], s[0:1]
	v_mul_f64 v[10:11], v[86:87], s[0:1]
	;; [unrolled: 1-line block ×6, first 2 shown]
	v_add_nc_u32_e32 v49, s2, v49
	v_add_co_u32 v50, vcc_lo, v48, s6
	v_mul_f64 v[20:21], v[96:97], s[0:1]
	v_mul_f64 v[22:23], v[98:99], s[0:1]
	s_delay_alu instid0(VALU_DEP_4) | instskip(NEXT) | instid1(VALU_DEP_4)
	v_add_co_ci_u32_e32 v51, vcc_lo, s3, v49, vcc_lo
	v_add_co_u32 v52, vcc_lo, v50, s6
	v_mul_f64 v[24:25], v[100:101], s[0:1]
	s_delay_alu instid0(VALU_DEP_3) | instskip(SKIP_1) | instid1(VALU_DEP_4)
	v_add_co_ci_u32_e32 v53, vcc_lo, s3, v51, vcc_lo
	v_mul_f64 v[26:27], v[102:103], s[0:1]
	v_add_co_u32 v54, vcc_lo, v52, s6
	s_delay_alu instid0(VALU_DEP_3) | instskip(NEXT) | instid1(VALU_DEP_2)
	v_add_co_ci_u32_e32 v55, vcc_lo, s3, v53, vcc_lo
	v_add_co_u32 v56, vcc_lo, v54, s6
	s_delay_alu instid0(VALU_DEP_2)
	v_add_co_ci_u32_e32 v57, vcc_lo, s3, v55, vcc_lo
	global_store_b128 v[44:45], v[0:3], off
	v_add_co_u32 v44, vcc_lo, v56, s6
	v_add_co_ci_u32_e32 v45, vcc_lo, s3, v57, vcc_lo
	v_mul_f64 v[0:1], v[120:121], s[0:1]
	v_mul_f64 v[2:3], v[122:123], s[0:1]
	global_store_b128 v[46:47], v[4:7], off
	v_add_co_u32 v4, vcc_lo, v44, s6
	v_add_co_ci_u32_e32 v5, vcc_lo, s3, v45, vcc_lo
	global_store_b128 v[48:49], v[8:11], off
	v_add_co_u32 v6, vcc_lo, v4, s6
	v_add_co_ci_u32_e32 v7, vcc_lo, s3, v5, vcc_lo
	;; [unrolled: 3-line block ×4, first 2 shown]
	global_store_b128 v[54:55], v[20:23], off
	global_store_b128 v[56:57], v[24:27], off
	;; [unrolled: 1-line block ×5, first 2 shown]
	v_mul_f64 v[4:5], v[124:125], s[0:1]
	v_mul_f64 v[6:7], v[126:127], s[0:1]
	v_mad_u64_u32 v[48:49], null, 0xffff7c60, s4, v[46:47]
	global_store_b128 v[8:9], v[40:43], off
	v_mul_f64 v[8:9], v[128:129], s[0:1]
	v_mul_f64 v[10:11], v[130:131], s[0:1]
	;; [unrolled: 1-line block ×5, first 2 shown]
	v_add_nc_u32_e32 v49, s2, v49
	v_add_co_u32 v44, vcc_lo, v48, s6
	v_mul_f64 v[18:19], v[138:139], s[0:1]
	v_mul_f64 v[20:21], v[140:141], s[0:1]
	s_delay_alu instid0(VALU_DEP_4)
	v_add_co_ci_u32_e32 v45, vcc_lo, s3, v49, vcc_lo
	v_mul_f64 v[22:23], v[142:143], s[0:1]
	v_add_co_u32 v50, vcc_lo, v44, s6
	v_mul_f64 v[24:25], v[144:145], s[0:1]
	v_mul_f64 v[26:27], v[146:147], s[0:1]
	;; [unrolled: 1-line block ×4, first 2 shown]
	v_add_co_ci_u32_e32 v51, vcc_lo, s3, v45, vcc_lo
	v_mul_f64 v[32:33], v[152:153], s[0:1]
	v_mul_f64 v[34:35], v[154:155], s[0:1]
	;; [unrolled: 1-line block ×6, first 2 shown]
	v_add_co_u32 v52, vcc_lo, v50, s6
	v_add_co_ci_u32_e32 v53, vcc_lo, s3, v51, vcc_lo
	global_store_b128 v[46:47], v[0:3], off
	v_add_co_u32 v0, vcc_lo, v52, s6
	v_add_co_ci_u32_e32 v1, vcc_lo, s3, v53, vcc_lo
	global_store_b128 v[48:49], v[4:7], off
	;; [unrolled: 3-line block ×7, first 2 shown]
	global_store_b128 v[4:5], v[28:31], off
	global_store_b128 v[6:7], v[32:35], off
	global_store_b128 v[8:9], v[36:39], off
	global_store_b128 v[0:1], v[40:43], off
.LBB0_2:
	s_nop 0
	s_sendmsg sendmsg(MSG_DEALLOC_VGPRS)
	s_endpgm
	.section	.rodata,"a",@progbits
	.p2align	6, 0x0
	.amdhsa_kernel bluestein_single_fwd_len2430_dim1_dp_op_CI_CI
		.amdhsa_group_segment_fixed_size 38880
		.amdhsa_private_segment_fixed_size 1940
		.amdhsa_kernarg_size 104
		.amdhsa_user_sgpr_count 15
		.amdhsa_user_sgpr_dispatch_ptr 0
		.amdhsa_user_sgpr_queue_ptr 0
		.amdhsa_user_sgpr_kernarg_segment_ptr 1
		.amdhsa_user_sgpr_dispatch_id 0
		.amdhsa_user_sgpr_private_segment_size 0
		.amdhsa_wavefront_size32 1
		.amdhsa_uses_dynamic_stack 0
		.amdhsa_enable_private_segment 1
		.amdhsa_system_sgpr_workgroup_id_x 1
		.amdhsa_system_sgpr_workgroup_id_y 0
		.amdhsa_system_sgpr_workgroup_id_z 0
		.amdhsa_system_sgpr_workgroup_info 0
		.amdhsa_system_vgpr_workitem_id 0
		.amdhsa_next_free_vgpr 256
		.amdhsa_next_free_sgpr 29
		.amdhsa_reserve_vcc 1
		.amdhsa_float_round_mode_32 0
		.amdhsa_float_round_mode_16_64 0
		.amdhsa_float_denorm_mode_32 3
		.amdhsa_float_denorm_mode_16_64 3
		.amdhsa_dx10_clamp 1
		.amdhsa_ieee_mode 1
		.amdhsa_fp16_overflow 0
		.amdhsa_workgroup_processor_mode 1
		.amdhsa_memory_ordered 1
		.amdhsa_forward_progress 0
		.amdhsa_shared_vgpr_count 0
		.amdhsa_exception_fp_ieee_invalid_op 0
		.amdhsa_exception_fp_denorm_src 0
		.amdhsa_exception_fp_ieee_div_zero 0
		.amdhsa_exception_fp_ieee_overflow 0
		.amdhsa_exception_fp_ieee_underflow 0
		.amdhsa_exception_fp_ieee_inexact 0
		.amdhsa_exception_int_div_zero 0
	.end_amdhsa_kernel
	.text
.Lfunc_end0:
	.size	bluestein_single_fwd_len2430_dim1_dp_op_CI_CI, .Lfunc_end0-bluestein_single_fwd_len2430_dim1_dp_op_CI_CI
                                        ; -- End function
	.section	.AMDGPU.csdata,"",@progbits
; Kernel info:
; codeLenInByte = 50264
; NumSgprs: 31
; NumVgprs: 256
; ScratchSize: 1940
; MemoryBound: 0
; FloatMode: 240
; IeeeMode: 1
; LDSByteSize: 38880 bytes/workgroup (compile time only)
; SGPRBlocks: 3
; VGPRBlocks: 31
; NumSGPRsForWavesPerEU: 31
; NumVGPRsForWavesPerEU: 256
; Occupancy: 3
; WaveLimiterHint : 1
; COMPUTE_PGM_RSRC2:SCRATCH_EN: 1
; COMPUTE_PGM_RSRC2:USER_SGPR: 15
; COMPUTE_PGM_RSRC2:TRAP_HANDLER: 0
; COMPUTE_PGM_RSRC2:TGID_X_EN: 1
; COMPUTE_PGM_RSRC2:TGID_Y_EN: 0
; COMPUTE_PGM_RSRC2:TGID_Z_EN: 0
; COMPUTE_PGM_RSRC2:TIDIG_COMP_CNT: 0
	.text
	.p2alignl 7, 3214868480
	.fill 96, 4, 3214868480
	.type	__hip_cuid_bd3b1617cf82129b,@object ; @__hip_cuid_bd3b1617cf82129b
	.section	.bss,"aw",@nobits
	.globl	__hip_cuid_bd3b1617cf82129b
__hip_cuid_bd3b1617cf82129b:
	.byte	0                               ; 0x0
	.size	__hip_cuid_bd3b1617cf82129b, 1

	.ident	"AMD clang version 19.0.0git (https://github.com/RadeonOpenCompute/llvm-project roc-6.4.0 25133 c7fe45cf4b819c5991fe208aaa96edf142730f1d)"
	.section	".note.GNU-stack","",@progbits
	.addrsig
	.addrsig_sym __hip_cuid_bd3b1617cf82129b
	.amdgpu_metadata
---
amdhsa.kernels:
  - .args:
      - .actual_access:  read_only
        .address_space:  global
        .offset:         0
        .size:           8
        .value_kind:     global_buffer
      - .actual_access:  read_only
        .address_space:  global
        .offset:         8
        .size:           8
        .value_kind:     global_buffer
      - .actual_access:  read_only
        .address_space:  global
        .offset:         16
        .size:           8
        .value_kind:     global_buffer
      - .actual_access:  read_only
        .address_space:  global
        .offset:         24
        .size:           8
        .value_kind:     global_buffer
      - .actual_access:  read_only
        .address_space:  global
        .offset:         32
        .size:           8
        .value_kind:     global_buffer
      - .offset:         40
        .size:           8
        .value_kind:     by_value
      - .address_space:  global
        .offset:         48
        .size:           8
        .value_kind:     global_buffer
      - .address_space:  global
        .offset:         56
        .size:           8
        .value_kind:     global_buffer
      - .address_space:  global
        .offset:         64
        .size:           8
        .value_kind:     global_buffer
      - .address_space:  global
        .offset:         72
        .size:           8
        .value_kind:     global_buffer
      - .offset:         80
        .size:           4
        .value_kind:     by_value
      - .address_space:  global
        .offset:         88
        .size:           8
        .value_kind:     global_buffer
      - .address_space:  global
        .offset:         96
        .size:           8
        .value_kind:     global_buffer
    .group_segment_fixed_size: 38880
    .kernarg_segment_align: 8
    .kernarg_segment_size: 104
    .language:       OpenCL C
    .language_version:
      - 2
      - 0
    .max_flat_workgroup_size: 81
    .name:           bluestein_single_fwd_len2430_dim1_dp_op_CI_CI
    .private_segment_fixed_size: 1940
    .sgpr_count:     31
    .sgpr_spill_count: 0
    .symbol:         bluestein_single_fwd_len2430_dim1_dp_op_CI_CI.kd
    .uniform_work_group_size: 1
    .uses_dynamic_stack: false
    .vgpr_count:     256
    .vgpr_spill_count: 489
    .wavefront_size: 32
    .workgroup_processor_mode: 1
amdhsa.target:   amdgcn-amd-amdhsa--gfx1100
amdhsa.version:
  - 1
  - 2
...

	.end_amdgpu_metadata
